;; amdgpu-corpus repo=ROCm/hip-tests kind=compiled arch=gfx90a opt=O3
	.text
	.amdgcn_target "amdgcn-amd-amdhsa--gfx90a"
	.amdhsa_code_object_version 6
	.section	.text._Z8vec_fillIiEvPT_S0_i,"axG",@progbits,_Z8vec_fillIiEvPT_S0_i,comdat
	.protected	_Z8vec_fillIiEvPT_S0_i  ; -- Begin function _Z8vec_fillIiEvPT_S0_i
	.globl	_Z8vec_fillIiEvPT_S0_i
	.p2align	8
	.type	_Z8vec_fillIiEvPT_S0_i,@function
_Z8vec_fillIiEvPT_S0_i:                 ; @_Z8vec_fillIiEvPT_S0_i
; %bb.0:
	s_load_dword s7, s[4:5], 0x1c
	s_load_dwordx2 s[2:3], s[4:5], 0x8
	s_add_u32 s0, s4, 16
	s_addc_u32 s1, s5, 0
	s_waitcnt lgkmcnt(0)
	s_and_b32 s12, s7, 0xffff
	s_mul_i32 s7, s6, s12
	v_add_u32_e32 v2, s7, v0
	v_cmp_gt_i32_e32 vcc, s3, v2
	s_and_saveexec_b64 s[8:9], vcc
	s_cbranch_execz .LBB0_8
; %bb.1:
	s_load_dword s13, s[0:1], 0x0
	s_load_dwordx2 s[8:9], s[4:5], 0x0
	s_waitcnt lgkmcnt(0)
	s_mul_i32 s4, s13, s12
	v_cvt_f32_u32_e32 v1, s4
	s_add_i32 s0, s6, s13
	s_mul_i32 s0, s0, s12
	s_sub_i32 s5, 0, s4
	v_rcp_iflag_f32_e32 v1, v1
	v_add_u32_e32 v3, s0, v0
	v_mov_b32_e32 v4, s0
	v_max_i32_e32 v5, s3, v3
	v_mul_f32_e32 v1, 0x4f7ffffe, v1
	v_cvt_u32_f32_e32 v1, v1
	v_cmp_gt_i32_e32 vcc, s3, v3
	v_addc_co_u32_e64 v0, s[0:1], v0, v4, vcc
	v_mul_lo_u32 v3, s5, v1
	v_mul_hi_u32 v3, v1, v3
	v_sub_u32_e32 v0, v5, v0
	v_add_u32_e32 v1, v1, v3
	v_mul_hi_u32 v1, v0, v1
	v_mul_lo_u32 v3, v1, s4
	v_sub_u32_e32 v0, v0, v3
	v_add_u32_e32 v4, 1, v1
	v_cmp_le_u32_e64 s[0:1], s4, v0
	v_subrev_u32_e32 v3, s4, v0
	v_cndmask_b32_e64 v1, v1, v4, s[0:1]
	v_cndmask_b32_e64 v0, v0, v3, s[0:1]
	v_add_u32_e32 v3, 1, v1
	v_cmp_le_u32_e64 s[0:1], s4, v0
	v_cndmask_b32_e64 v0, v1, v3, s[0:1]
	v_addc_co_u32_e32 v4, vcc, 1, v0, vcc
	v_cmp_lt_u32_e32 vcc, 1, v4
	s_mov_b64 s[0:1], -1
	s_and_saveexec_b64 s[6:7], vcc
	s_cbranch_execz .LBB0_5
; %bb.2:
	v_and_b32_e32 v5, -2, v4
	v_add_u32_e32 v3, s4, v2
	s_lshl_b32 s5, s4, 1
	s_mov_b32 s14, s5
	s_mov_b32 s15, s2
	;; [unrolled: 1-line block ×3, first 2 shown]
	s_mov_b64 s[10:11], 0
	v_mov_b32_e32 v6, s9
	v_mov_b32_e32 v7, v5
	v_pk_mov_b32 v[0:1], v[2:3], v[2:3] op_sel:[0,1]
.LBB0_3:                                ; =>This Inner Loop Header: Depth=1
	v_ashrrev_i32_e32 v11, 31, v0
	v_mov_b32_e32 v10, v0
	v_lshlrev_b64 v[10:11], 2, v[10:11]
	v_ashrrev_i32_e32 v9, 31, v1
	v_mov_b32_e32 v8, v1
	v_add_u32_e32 v7, -2, v7
	v_add_co_u32_e64 v10, s[0:1], s8, v10
	v_lshlrev_b64 v[8:9], 2, v[8:9]
	v_cmp_eq_u32_e32 vcc, 0, v7
	v_addc_co_u32_e64 v11, s[0:1], v6, v11, s[0:1]
	v_mul_lo_u32 v3, v1, s16
	v_mul_lo_u32 v12, v0, s15
	v_add_u32_e32 v1, s14, v1
	v_add_u32_e32 v0, s5, v0
	v_add_co_u32_e64 v8, s[0:1], s8, v8
	s_or_b64 s[10:11], vcc, s[10:11]
	v_addc_co_u32_e64 v9, s[0:1], v6, v9, s[0:1]
	global_store_dword v[10:11], v12, off
	global_store_dword v[8:9], v3, off
	s_andn2_b64 exec, exec, s[10:11]
	s_cbranch_execnz .LBB0_3
; %bb.4:
	s_or_b64 exec, exec, s[10:11]
	v_mad_u64_u32 v[2:3], s[0:1], v5, s4, v[2:3]
	v_cmp_ne_u32_e32 vcc, v4, v5
	s_orn2_b64 s[0:1], vcc, exec
.LBB0_5:
	s_or_b64 exec, exec, s[6:7]
	s_and_b64 exec, exec, s[0:1]
	s_cbranch_execz .LBB0_8
; %bb.6:
	v_ashrrev_i32_e32 v3, 31, v2
	v_lshlrev_b64 v[0:1], 2, v[2:3]
	v_mov_b32_e32 v3, s9
	v_add_co_u32_e32 v0, vcc, s8, v0
	s_ashr_i32 s5, s4, 31
	v_addc_co_u32_e32 v1, vcc, v3, v1, vcc
	s_lshl_b64 s[0:1], s[4:5], 2
	v_mul_lo_u32 v3, v2, s2
	s_mul_i32 s2, s13, s2
	s_mul_i32 s2, s2, s12
	s_mov_b64 s[6:7], 0
	v_mov_b32_e32 v4, s1
.LBB0_7:                                ; =>This Inner Loop Header: Depth=1
	global_store_dword v[0:1], v3, off
	v_add_co_u32_e32 v0, vcc, s0, v0
	v_add_u32_e32 v2, s4, v2
	v_addc_co_u32_e32 v1, vcc, v1, v4, vcc
	v_cmp_le_i32_e32 vcc, s3, v2
	s_or_b64 s[6:7], vcc, s[6:7]
	v_add_u32_e32 v3, s2, v3
	s_andn2_b64 exec, exec, s[6:7]
	s_cbranch_execnz .LBB0_7
.LBB0_8:
	s_endpgm
	.section	.rodata,"a",@progbits
	.p2align	6, 0x0
	.amdhsa_kernel _Z8vec_fillIiEvPT_S0_i
		.amdhsa_group_segment_fixed_size 0
		.amdhsa_private_segment_fixed_size 0
		.amdhsa_kernarg_size 272
		.amdhsa_user_sgpr_count 6
		.amdhsa_user_sgpr_private_segment_buffer 1
		.amdhsa_user_sgpr_dispatch_ptr 0
		.amdhsa_user_sgpr_queue_ptr 0
		.amdhsa_user_sgpr_kernarg_segment_ptr 1
		.amdhsa_user_sgpr_dispatch_id 0
		.amdhsa_user_sgpr_flat_scratch_init 0
		.amdhsa_user_sgpr_kernarg_preload_length 0
		.amdhsa_user_sgpr_kernarg_preload_offset 0
		.amdhsa_user_sgpr_private_segment_size 0
		.amdhsa_uses_dynamic_stack 0
		.amdhsa_system_sgpr_private_segment_wavefront_offset 0
		.amdhsa_system_sgpr_workgroup_id_x 1
		.amdhsa_system_sgpr_workgroup_id_y 0
		.amdhsa_system_sgpr_workgroup_id_z 0
		.amdhsa_system_sgpr_workgroup_info 0
		.amdhsa_system_vgpr_workitem_id 0
		.amdhsa_next_free_vgpr 13
		.amdhsa_next_free_sgpr 17
		.amdhsa_accum_offset 16
		.amdhsa_reserve_vcc 1
		.amdhsa_reserve_flat_scratch 0
		.amdhsa_float_round_mode_32 0
		.amdhsa_float_round_mode_16_64 0
		.amdhsa_float_denorm_mode_32 3
		.amdhsa_float_denorm_mode_16_64 3
		.amdhsa_dx10_clamp 1
		.amdhsa_ieee_mode 1
		.amdhsa_fp16_overflow 0
		.amdhsa_tg_split 0
		.amdhsa_exception_fp_ieee_invalid_op 0
		.amdhsa_exception_fp_denorm_src 0
		.amdhsa_exception_fp_ieee_div_zero 0
		.amdhsa_exception_fp_ieee_overflow 0
		.amdhsa_exception_fp_ieee_underflow 0
		.amdhsa_exception_fp_ieee_inexact 0
		.amdhsa_exception_int_div_zero 0
	.end_amdhsa_kernel
	.section	.text._Z8vec_fillIiEvPT_S0_i,"axG",@progbits,_Z8vec_fillIiEvPT_S0_i,comdat
.Lfunc_end0:
	.size	_Z8vec_fillIiEvPT_S0_i, .Lfunc_end0-_Z8vec_fillIiEvPT_S0_i
                                        ; -- End function
	.section	.AMDGPU.csdata,"",@progbits
; Kernel info:
; codeLenInByte = 552
; NumSgprs: 21
; NumVgprs: 13
; NumAgprs: 0
; TotalNumVgprs: 13
; ScratchSize: 0
; MemoryBound: 0
; FloatMode: 240
; IeeeMode: 1
; LDSByteSize: 0 bytes/workgroup (compile time only)
; SGPRBlocks: 2
; VGPRBlocks: 1
; NumSGPRsForWavesPerEU: 21
; NumVGPRsForWavesPerEU: 13
; AccumOffset: 16
; Occupancy: 8
; WaveLimiterHint : 0
; COMPUTE_PGM_RSRC2:SCRATCH_EN: 0
; COMPUTE_PGM_RSRC2:USER_SGPR: 6
; COMPUTE_PGM_RSRC2:TRAP_HANDLER: 0
; COMPUTE_PGM_RSRC2:TGID_X_EN: 1
; COMPUTE_PGM_RSRC2:TGID_Y_EN: 0
; COMPUTE_PGM_RSRC2:TGID_Z_EN: 0
; COMPUTE_PGM_RSRC2:TIDIG_COMP_CNT: 0
; COMPUTE_PGM_RSRC3_GFX90A:ACCUM_OFFSET: 3
; COMPUTE_PGM_RSRC3_GFX90A:TG_SPLIT: 0
	.section	.text._Z10vec_verifyIiEvPT_S0_i,"axG",@progbits,_Z10vec_verifyIiEvPT_S0_i,comdat
	.protected	_Z10vec_verifyIiEvPT_S0_i ; -- Begin function _Z10vec_verifyIiEvPT_S0_i
	.globl	_Z10vec_verifyIiEvPT_S0_i
	.p2align	8
	.type	_Z10vec_verifyIiEvPT_S0_i,@function
_Z10vec_verifyIiEvPT_S0_i:              ; @_Z10vec_verifyIiEvPT_S0_i
; %bb.0:
	s_load_dword s0, s[4:5], 0x1c
	s_load_dwordx2 s[2:3], s[4:5], 0x8
	s_add_u32 s8, s4, 16
	s_addc_u32 s9, s5, 0
	s_waitcnt lgkmcnt(0)
	s_and_b32 s0, s0, 0xffff
	s_mul_i32 s6, s6, s0
	v_add_u32_e32 v38, s6, v0
	v_cmp_gt_i32_e32 vcc, s3, v38
	s_and_saveexec_b64 s[6:7], vcc
	s_cbranch_execz .LBB1_221
; %bb.1:
	s_load_dword s33, s[8:9], 0x0
	s_load_dwordx2 s[10:11], s[4:5], 0x0
	s_getpc_b64 s[4:5]
	s_add_u32 s4, s4, .str.1@rel32@lo+4
	s_addc_u32 s5, s5, .str.1@rel32@hi+12
	v_mbcnt_lo_u32_b32 v0, -1, 0
	s_cmp_lg_u64 s[4:5], 0
	v_mbcnt_hi_u32_b32 v41, -1, v0
	s_mov_b64 s[12:13], 0
	s_waitcnt lgkmcnt(0)
	s_mul_i32 s33, s33, s0
	s_cselect_b64 s[14:15], -1, 0
	v_mov_b32_e32 v40, s11
	s_mov_b32 s4, 0
	v_mov_b32_e32 v3, 0
	s_movk_i32 s11, 0xff1f
	s_movk_i32 s34, 0xff1d
	v_mov_b32_e32 v6, 2
	v_mov_b32_e32 v7, 1
	v_lshlrev_b32_e32 v42, 6, v41
	v_mov_b32_e32 v0, 33
	s_branch .LBB1_3
.LBB1_2:                                ;   in Loop: Header=BB1_3 Depth=1
	s_or_b64 exec, exec, s[16:17]
	v_add_u32_e32 v38, s33, v38
	v_cmp_le_i32_e32 vcc, s3, v38
	s_or_b64 s[12:13], vcc, s[12:13]
	s_andn2_b64 exec, exec, s[12:13]
	s_cbranch_execz .LBB1_221
.LBB1_3:                                ; =>This Loop Header: Depth=1
                                        ;     Child Loop BB1_7 Depth 2
                                        ;     Child Loop BB1_15 Depth 2
	;; [unrolled: 1-line block ×9, first 2 shown]
                                        ;       Child Loop BB1_36 Depth 3
                                        ;       Child Loop BB1_43 Depth 3
	;; [unrolled: 1-line block ×11, first 2 shown]
                                        ;     Child Loop BB1_146 Depth 2
                                        ;     Child Loop BB1_154 Depth 2
	;; [unrolled: 1-line block ×12, first 2 shown]
	v_ashrrev_i32_e32 v39, 31, v38
	v_lshlrev_b64 v[4:5], 2, v[38:39]
	v_add_co_u32_e32 v4, vcc, s10, v4
	v_addc_co_u32_e32 v5, vcc, v40, v5, vcc
	global_load_dword v14, v[4:5], off
	v_mul_lo_u32 v10, v38, s2
	s_waitcnt vmcnt(0)
	v_cmp_ne_u32_e32 vcc, v14, v10
	s_and_saveexec_b64 s[16:17], vcc
	s_cbranch_execz .LBB1_2
; %bb.4:                                ;   in Loop: Header=BB1_3 Depth=1
	s_load_dwordx2 s[18:19], s[8:9], 0x50
	v_readfirstlane_b32 s0, v41
	v_cmp_eq_u32_e64 s[0:1], s0, v41
	v_pk_mov_b32 v[4:5], 0, 0
	s_and_saveexec_b64 s[6:7], s[0:1]
	s_cbranch_execz .LBB1_10
; %bb.5:                                ;   in Loop: Header=BB1_3 Depth=1
	s_waitcnt lgkmcnt(0)
	global_load_dwordx2 v[18:19], v3, s[18:19] offset:24 glc
	s_waitcnt vmcnt(0)
	buffer_invl2
	buffer_wbinvl1_vol
	global_load_dwordx2 v[4:5], v3, s[18:19] offset:40
	global_load_dwordx2 v[8:9], v3, s[18:19]
	s_waitcnt vmcnt(1)
	v_and_b32_e32 v1, v4, v18
	v_and_b32_e32 v2, v5, v19
	v_mul_lo_u32 v2, v2, 24
	v_mul_hi_u32 v4, v1, 24
	v_mul_lo_u32 v1, v1, 24
	v_add_u32_e32 v2, v4, v2
	s_waitcnt vmcnt(0)
	v_add_co_u32_e32 v4, vcc, v8, v1
	v_addc_co_u32_e32 v5, vcc, v9, v2, vcc
	global_load_dwordx2 v[16:17], v[4:5], off glc
	s_waitcnt vmcnt(0)
	global_atomic_cmpswap_x2 v[4:5], v3, v[16:19], s[18:19] offset:24 glc
	s_waitcnt vmcnt(0)
	buffer_invl2
	buffer_wbinvl1_vol
	v_cmp_ne_u64_e32 vcc, v[4:5], v[18:19]
	s_and_saveexec_b64 s[20:21], vcc
	s_cbranch_execz .LBB1_9
; %bb.6:                                ;   in Loop: Header=BB1_3 Depth=1
	s_mov_b64 s[22:23], 0
.LBB1_7:                                ;   Parent Loop BB1_3 Depth=1
                                        ; =>  This Inner Loop Header: Depth=2
	s_sleep 1
	global_load_dwordx2 v[8:9], v3, s[18:19] offset:40
	global_load_dwordx2 v[12:13], v3, s[18:19]
	v_pk_mov_b32 v[18:19], v[4:5], v[4:5] op_sel:[0,1]
	s_waitcnt vmcnt(1)
	v_and_b32_e32 v2, v8, v18
	s_waitcnt vmcnt(0)
	v_mad_u64_u32 v[4:5], s[24:25], v2, 24, v[12:13]
	v_and_b32_e32 v1, v9, v19
	v_mov_b32_e32 v2, v5
	v_mad_u64_u32 v[8:9], s[24:25], v1, 24, v[2:3]
	v_mov_b32_e32 v5, v8
	global_load_dwordx2 v[16:17], v[4:5], off glc
	s_waitcnt vmcnt(0)
	global_atomic_cmpswap_x2 v[4:5], v3, v[16:19], s[18:19] offset:24 glc
	s_waitcnt vmcnt(0)
	buffer_invl2
	buffer_wbinvl1_vol
	v_cmp_eq_u64_e32 vcc, v[4:5], v[18:19]
	s_or_b64 s[22:23], vcc, s[22:23]
	s_andn2_b64 exec, exec, s[22:23]
	s_cbranch_execnz .LBB1_7
; %bb.8:                                ;   in Loop: Header=BB1_3 Depth=1
	s_or_b64 exec, exec, s[22:23]
.LBB1_9:                                ;   in Loop: Header=BB1_3 Depth=1
	s_or_b64 exec, exec, s[20:21]
.LBB1_10:                               ;   in Loop: Header=BB1_3 Depth=1
	s_or_b64 exec, exec, s[6:7]
	s_waitcnt lgkmcnt(0)
	global_load_dwordx2 v[8:9], v3, s[18:19] offset:40
	global_load_dwordx4 v[16:19], v3, s[18:19]
	v_readfirstlane_b32 s20, v4
	v_readfirstlane_b32 s21, v5
	s_mov_b64 s[6:7], exec
	s_waitcnt vmcnt(1)
	v_readfirstlane_b32 s22, v8
	v_readfirstlane_b32 s23, v9
	s_and_b64 s[22:23], s[20:21], s[22:23]
	s_mul_i32 s5, s23, 24
	s_mul_hi_u32 s24, s22, 24
	s_mul_i32 s25, s22, 24
	s_add_i32 s5, s24, s5
	v_mov_b32_e32 v1, s5
	s_waitcnt vmcnt(0)
	v_add_co_u32_e32 v8, vcc, s25, v16
	v_addc_co_u32_e32 v9, vcc, v17, v1, vcc
	s_and_saveexec_b64 s[24:25], s[0:1]
	s_cbranch_execz .LBB1_12
; %bb.11:                               ;   in Loop: Header=BB1_3 Depth=1
	v_pk_mov_b32 v[4:5], s[6:7], s[6:7] op_sel:[0,1]
	global_store_dwordx4 v[8:9], v[4:7], off offset:8
.LBB1_12:                               ;   in Loop: Header=BB1_3 Depth=1
	s_or_b64 exec, exec, s[24:25]
	s_lshl_b64 s[6:7], s[22:23], 12
	v_mov_b32_e32 v1, s7
	v_add_co_u32_e32 v4, vcc, s6, v18
	s_mov_b32 s6, s4
	s_mov_b32 s7, s4
	v_addc_co_u32_e32 v5, vcc, v19, v1, vcc
	s_mov_b32 s5, s4
	v_pk_mov_b32 v[20:21], s[6:7], s[6:7] op_sel:[0,1]
	v_mov_b32_e32 v1, v3
	v_mov_b32_e32 v2, v3
	v_readfirstlane_b32 s22, v4
	v_readfirstlane_b32 s23, v5
	v_pk_mov_b32 v[18:19], s[4:5], s[4:5] op_sel:[0,1]
	s_nop 3
	global_store_dwordx4 v42, v[0:3], s[22:23]
	global_store_dwordx4 v42, v[18:21], s[22:23] offset:16
	global_store_dwordx4 v42, v[18:21], s[22:23] offset:32
	;; [unrolled: 1-line block ×3, first 2 shown]
	s_and_saveexec_b64 s[6:7], s[0:1]
	s_cbranch_execz .LBB1_20
; %bb.13:                               ;   in Loop: Header=BB1_3 Depth=1
	global_load_dwordx2 v[20:21], v3, s[18:19] offset:32 glc
	global_load_dwordx2 v[12:13], v3, s[18:19] offset:40
	v_mov_b32_e32 v18, s20
	v_mov_b32_e32 v19, s21
	s_waitcnt vmcnt(0)
	v_and_b32_e32 v1, s20, v12
	v_and_b32_e32 v2, s21, v13
	v_mul_lo_u32 v2, v2, 24
	v_mul_hi_u32 v11, v1, 24
	v_mul_lo_u32 v1, v1, 24
	v_add_u32_e32 v2, v11, v2
	v_add_co_u32_e32 v12, vcc, v16, v1
	v_addc_co_u32_e32 v13, vcc, v17, v2, vcc
	global_store_dwordx2 v[12:13], v[20:21], off
	buffer_wbl2
	s_waitcnt vmcnt(0)
	global_atomic_cmpswap_x2 v[18:19], v3, v[18:21], s[18:19] offset:32 glc
	s_waitcnt vmcnt(0)
	v_cmp_ne_u64_e32 vcc, v[18:19], v[20:21]
	s_and_saveexec_b64 s[22:23], vcc
	s_cbranch_execz .LBB1_16
; %bb.14:                               ;   in Loop: Header=BB1_3 Depth=1
	s_mov_b64 s[24:25], 0
.LBB1_15:                               ;   Parent Loop BB1_3 Depth=1
                                        ; =>  This Inner Loop Header: Depth=2
	s_sleep 1
	global_store_dwordx2 v[12:13], v[18:19], off
	v_mov_b32_e32 v16, s20
	v_mov_b32_e32 v17, s21
	buffer_wbl2
	s_waitcnt vmcnt(0)
	global_atomic_cmpswap_x2 v[16:17], v3, v[16:19], s[18:19] offset:32 glc
	s_waitcnt vmcnt(0)
	v_cmp_eq_u64_e32 vcc, v[16:17], v[18:19]
	s_or_b64 s[24:25], vcc, s[24:25]
	v_pk_mov_b32 v[18:19], v[16:17], v[16:17] op_sel:[0,1]
	s_andn2_b64 exec, exec, s[24:25]
	s_cbranch_execnz .LBB1_15
.LBB1_16:                               ;   in Loop: Header=BB1_3 Depth=1
	s_or_b64 exec, exec, s[22:23]
	global_load_dwordx2 v[12:13], v3, s[18:19] offset:16
	s_mov_b64 s[24:25], exec
	v_mbcnt_lo_u32_b32 v1, s24, 0
	v_mbcnt_hi_u32_b32 v1, s25, v1
	v_cmp_eq_u32_e32 vcc, 0, v1
	s_and_saveexec_b64 s[22:23], vcc
	s_cbranch_execz .LBB1_18
; %bb.17:                               ;   in Loop: Header=BB1_3 Depth=1
	s_bcnt1_i32_b64 s5, s[24:25]
	v_mov_b32_e32 v2, s5
	buffer_wbl2
	s_waitcnt vmcnt(0)
	global_atomic_add_x2 v[12:13], v[2:3], off offset:8
.LBB1_18:                               ;   in Loop: Header=BB1_3 Depth=1
	s_or_b64 exec, exec, s[22:23]
	s_waitcnt vmcnt(0)
	global_load_dwordx2 v[16:17], v[12:13], off offset:16
	s_waitcnt vmcnt(0)
	v_cmp_eq_u64_e32 vcc, 0, v[16:17]
	s_cbranch_vccnz .LBB1_20
; %bb.19:                               ;   in Loop: Header=BB1_3 Depth=1
	global_load_dword v2, v[12:13], off offset:24
	s_waitcnt vmcnt(0)
	v_and_b32_e32 v1, 0xffffff, v2
	v_readfirstlane_b32 m0, v1
	buffer_wbl2
	global_store_dwordx2 v[16:17], v[2:3], off
	s_sendmsg sendmsg(MSG_INTERRUPT)
.LBB1_20:                               ;   in Loop: Header=BB1_3 Depth=1
	s_or_b64 exec, exec, s[6:7]
	v_add_co_u32_e32 v4, vcc, v4, v42
	v_addc_co_u32_e32 v5, vcc, 0, v5, vcc
	s_branch .LBB1_24
.LBB1_21:                               ;   in Loop: Header=BB1_24 Depth=2
	s_or_b64 exec, exec, s[6:7]
	v_readfirstlane_b32 s5, v1
	s_cmp_eq_u32 s5, 0
	s_cbranch_scc1 .LBB1_23
; %bb.22:                               ;   in Loop: Header=BB1_24 Depth=2
	s_sleep 1
	s_cbranch_execnz .LBB1_24
	s_branch .LBB1_26
.LBB1_23:                               ;   in Loop: Header=BB1_3 Depth=1
	s_branch .LBB1_26
.LBB1_24:                               ;   Parent Loop BB1_3 Depth=1
                                        ; =>  This Inner Loop Header: Depth=2
	v_mov_b32_e32 v1, 1
	s_and_saveexec_b64 s[6:7], s[0:1]
	s_cbranch_execz .LBB1_21
; %bb.25:                               ;   in Loop: Header=BB1_24 Depth=2
	global_load_dword v1, v[8:9], off offset:20 glc
	s_waitcnt vmcnt(0)
	buffer_invl2
	buffer_wbinvl1_vol
	v_and_b32_e32 v1, 1, v1
	s_branch .LBB1_21
.LBB1_26:                               ;   in Loop: Header=BB1_3 Depth=1
	global_load_dwordx2 v[16:17], v[4:5], off
	s_and_saveexec_b64 s[6:7], s[0:1]
	s_cbranch_execz .LBB1_30
; %bb.27:                               ;   in Loop: Header=BB1_3 Depth=1
	global_load_dwordx2 v[4:5], v3, s[18:19] offset:40
	global_load_dwordx2 v[8:9], v3, s[18:19] offset:24 glc
	global_load_dwordx2 v[12:13], v3, s[18:19]
	v_mov_b32_e32 v1, s21
	s_waitcnt vmcnt(2)
	v_add_co_u32_e32 v2, vcc, 1, v4
	v_addc_co_u32_e32 v11, vcc, 0, v5, vcc
	v_add_co_u32_e32 v18, vcc, s20, v2
	v_addc_co_u32_e32 v19, vcc, v11, v1, vcc
	v_cmp_eq_u64_e32 vcc, 0, v[18:19]
	v_cndmask_b32_e32 v19, v19, v11, vcc
	v_cndmask_b32_e32 v18, v18, v2, vcc
	v_and_b32_e32 v1, v19, v5
	v_and_b32_e32 v2, v18, v4
	v_mul_lo_u32 v1, v1, 24
	v_mul_hi_u32 v4, v2, 24
	v_mul_lo_u32 v2, v2, 24
	v_add_u32_e32 v1, v4, v1
	s_waitcnt vmcnt(0)
	v_add_co_u32_e32 v4, vcc, v12, v2
	v_addc_co_u32_e32 v5, vcc, v13, v1, vcc
	v_mov_b32_e32 v20, v8
	global_store_dwordx2 v[4:5], v[8:9], off
	v_mov_b32_e32 v21, v9
	buffer_wbl2
	s_waitcnt vmcnt(0)
	global_atomic_cmpswap_x2 v[20:21], v3, v[18:21], s[18:19] offset:24 glc
	s_waitcnt vmcnt(0)
	v_cmp_ne_u64_e32 vcc, v[20:21], v[8:9]
	s_and_b64 exec, exec, vcc
	s_cbranch_execz .LBB1_30
; %bb.28:                               ;   in Loop: Header=BB1_3 Depth=1
	s_mov_b64 s[0:1], 0
.LBB1_29:                               ;   Parent Loop BB1_3 Depth=1
                                        ; =>  This Inner Loop Header: Depth=2
	s_sleep 1
	global_store_dwordx2 v[4:5], v[20:21], off
	buffer_wbl2
	s_waitcnt vmcnt(0)
	global_atomic_cmpswap_x2 v[8:9], v3, v[18:21], s[18:19] offset:24 glc
	s_waitcnt vmcnt(0)
	v_cmp_eq_u64_e32 vcc, v[8:9], v[20:21]
	s_or_b64 s[0:1], vcc, s[0:1]
	v_pk_mov_b32 v[20:21], v[8:9], v[8:9] op_sel:[0,1]
	s_andn2_b64 exec, exec, s[0:1]
	s_cbranch_execnz .LBB1_29
.LBB1_30:                               ;   in Loop: Header=BB1_3 Depth=1
	s_or_b64 exec, exec, s[6:7]
	s_and_b64 vcc, exec, s[14:15]
	s_cbranch_vccz .LBB1_115
; %bb.31:                               ;   in Loop: Header=BB1_3 Depth=1
	s_waitcnt vmcnt(0)
	v_and_b32_e32 v8, 2, v16
	v_and_b32_e32 v18, -3, v16
	v_mov_b32_e32 v19, v17
	s_mov_b64 s[20:21], 35
	s_getpc_b64 s[6:7]
	s_add_u32 s6, s6, .str.1@rel32@lo+4
	s_addc_u32 s7, s7, .str.1@rel32@hi+12
	s_branch .LBB1_33
.LBB1_32:                               ;   in Loop: Header=BB1_33 Depth=2
	s_or_b64 exec, exec, s[26:27]
	s_sub_u32 s20, s20, s22
	s_subb_u32 s21, s21, s23
	s_add_u32 s6, s6, s22
	s_addc_u32 s7, s7, s23
	s_cmp_lg_u64 s[20:21], 0
	s_cbranch_scc0 .LBB1_114
.LBB1_33:                               ;   Parent Loop BB1_3 Depth=1
                                        ; =>  This Loop Header: Depth=2
                                        ;       Child Loop BB1_36 Depth 3
                                        ;       Child Loop BB1_43 Depth 3
	;; [unrolled: 1-line block ×11, first 2 shown]
	v_cmp_lt_u64_e64 s[0:1], s[20:21], 56
	s_and_b64 s[0:1], s[0:1], exec
	v_cmp_gt_u64_e64 s[0:1], s[20:21], 7
	s_cselect_b32 s23, s21, 0
	s_cselect_b32 s22, s20, 56
	s_and_b64 vcc, exec, s[0:1]
	s_cbranch_vccnz .LBB1_38
; %bb.34:                               ;   in Loop: Header=BB1_33 Depth=2
	s_mov_b64 s[0:1], 0
	s_cmp_eq_u64 s[20:21], 0
	s_waitcnt vmcnt(0)
	v_pk_mov_b32 v[20:21], 0, 0
	s_cbranch_scc1 .LBB1_37
; %bb.35:                               ;   in Loop: Header=BB1_33 Depth=2
	s_lshl_b64 s[24:25], s[22:23], 3
	s_mov_b64 s[26:27], 0
	v_pk_mov_b32 v[20:21], 0, 0
	s_mov_b64 s[28:29], s[6:7]
.LBB1_36:                               ;   Parent Loop BB1_3 Depth=1
                                        ;     Parent Loop BB1_33 Depth=2
                                        ; =>    This Inner Loop Header: Depth=3
	global_load_ubyte v1, v3, s[28:29]
	s_waitcnt vmcnt(0)
	v_and_b32_e32 v2, 0xffff, v1
	v_lshlrev_b64 v[4:5], s26, v[2:3]
	s_add_u32 s26, s26, 8
	s_addc_u32 s27, s27, 0
	s_add_u32 s28, s28, 1
	s_addc_u32 s29, s29, 0
	v_or_b32_e32 v20, v4, v20
	s_cmp_lg_u32 s24, s26
	v_or_b32_e32 v21, v5, v21
	s_cbranch_scc1 .LBB1_36
.LBB1_37:                               ;   in Loop: Header=BB1_33 Depth=2
	s_mov_b32 s5, 0
	s_andn2_b64 vcc, exec, s[0:1]
	s_mov_b64 s[0:1], s[6:7]
	s_cbranch_vccz .LBB1_39
	s_branch .LBB1_40
.LBB1_38:                               ;   in Loop: Header=BB1_33 Depth=2
                                        ; implicit-def: $vgpr20_vgpr21
                                        ; implicit-def: $sgpr5
	s_mov_b64 s[0:1], s[6:7]
.LBB1_39:                               ;   in Loop: Header=BB1_33 Depth=2
	global_load_dwordx2 v[20:21], v3, s[6:7]
	s_add_i32 s5, s22, -8
	s_add_u32 s0, s6, 8
	s_addc_u32 s1, s7, 0
.LBB1_40:                               ;   in Loop: Header=BB1_33 Depth=2
	s_cmp_gt_u32 s5, 7
	s_cbranch_scc1 .LBB1_44
; %bb.41:                               ;   in Loop: Header=BB1_33 Depth=2
	s_cmp_eq_u32 s5, 0
	s_cbranch_scc1 .LBB1_45
; %bb.42:                               ;   in Loop: Header=BB1_33 Depth=2
	s_mov_b64 s[24:25], 0
	v_pk_mov_b32 v[22:23], 0, 0
	s_mov_b64 s[26:27], 0
.LBB1_43:                               ;   Parent Loop BB1_3 Depth=1
                                        ;     Parent Loop BB1_33 Depth=2
                                        ; =>    This Inner Loop Header: Depth=3
	s_add_u32 s28, s0, s26
	s_addc_u32 s29, s1, s27
	global_load_ubyte v1, v3, s[28:29]
	s_add_u32 s26, s26, 1
	s_addc_u32 s27, s27, 0
	s_waitcnt vmcnt(0)
	v_and_b32_e32 v2, 0xffff, v1
	v_lshlrev_b64 v[4:5], s24, v[2:3]
	s_add_u32 s24, s24, 8
	s_addc_u32 s25, s25, 0
	v_or_b32_e32 v22, v4, v22
	s_cmp_lg_u32 s5, s26
	v_or_b32_e32 v23, v5, v23
	s_cbranch_scc1 .LBB1_43
	s_branch .LBB1_46
.LBB1_44:                               ;   in Loop: Header=BB1_33 Depth=2
                                        ; implicit-def: $vgpr22_vgpr23
                                        ; implicit-def: $sgpr28
	s_branch .LBB1_47
.LBB1_45:                               ;   in Loop: Header=BB1_33 Depth=2
	v_pk_mov_b32 v[22:23], 0, 0
.LBB1_46:                               ;   in Loop: Header=BB1_33 Depth=2
	s_mov_b32 s28, 0
	s_cbranch_execnz .LBB1_48
.LBB1_47:                               ;   in Loop: Header=BB1_33 Depth=2
	global_load_dwordx2 v[22:23], v3, s[0:1]
	s_add_i32 s28, s5, -8
	s_add_u32 s0, s0, 8
	s_addc_u32 s1, s1, 0
.LBB1_48:                               ;   in Loop: Header=BB1_33 Depth=2
	s_cmp_gt_u32 s28, 7
	s_cbranch_scc1 .LBB1_52
; %bb.49:                               ;   in Loop: Header=BB1_33 Depth=2
	s_cmp_eq_u32 s28, 0
	s_cbranch_scc1 .LBB1_53
; %bb.50:                               ;   in Loop: Header=BB1_33 Depth=2
	s_mov_b64 s[24:25], 0
	v_pk_mov_b32 v[24:25], 0, 0
	s_mov_b64 s[26:27], 0
.LBB1_51:                               ;   Parent Loop BB1_3 Depth=1
                                        ;     Parent Loop BB1_33 Depth=2
                                        ; =>    This Inner Loop Header: Depth=3
	s_add_u32 s30, s0, s26
	s_addc_u32 s31, s1, s27
	global_load_ubyte v1, v3, s[30:31]
	s_add_u32 s26, s26, 1
	s_addc_u32 s27, s27, 0
	s_waitcnt vmcnt(0)
	v_and_b32_e32 v2, 0xffff, v1
	v_lshlrev_b64 v[4:5], s24, v[2:3]
	s_add_u32 s24, s24, 8
	s_addc_u32 s25, s25, 0
	v_or_b32_e32 v24, v4, v24
	s_cmp_lg_u32 s28, s26
	v_or_b32_e32 v25, v5, v25
	s_cbranch_scc1 .LBB1_51
	s_branch .LBB1_54
.LBB1_52:                               ;   in Loop: Header=BB1_33 Depth=2
                                        ; implicit-def: $sgpr5
	s_branch .LBB1_55
.LBB1_53:                               ;   in Loop: Header=BB1_33 Depth=2
	v_pk_mov_b32 v[24:25], 0, 0
.LBB1_54:                               ;   in Loop: Header=BB1_33 Depth=2
	s_mov_b32 s5, 0
	s_cbranch_execnz .LBB1_56
.LBB1_55:                               ;   in Loop: Header=BB1_33 Depth=2
	global_load_dwordx2 v[24:25], v3, s[0:1]
	s_add_i32 s5, s28, -8
	s_add_u32 s0, s0, 8
	s_addc_u32 s1, s1, 0
.LBB1_56:                               ;   in Loop: Header=BB1_33 Depth=2
	s_cmp_gt_u32 s5, 7
	s_cbranch_scc1 .LBB1_60
; %bb.57:                               ;   in Loop: Header=BB1_33 Depth=2
	s_cmp_eq_u32 s5, 0
	s_cbranch_scc1 .LBB1_61
; %bb.58:                               ;   in Loop: Header=BB1_33 Depth=2
	s_mov_b64 s[24:25], 0
	v_pk_mov_b32 v[26:27], 0, 0
	s_mov_b64 s[26:27], 0
.LBB1_59:                               ;   Parent Loop BB1_3 Depth=1
                                        ;     Parent Loop BB1_33 Depth=2
                                        ; =>    This Inner Loop Header: Depth=3
	s_add_u32 s28, s0, s26
	s_addc_u32 s29, s1, s27
	global_load_ubyte v1, v3, s[28:29]
	s_add_u32 s26, s26, 1
	s_addc_u32 s27, s27, 0
	s_waitcnt vmcnt(0)
	v_and_b32_e32 v2, 0xffff, v1
	v_lshlrev_b64 v[4:5], s24, v[2:3]
	s_add_u32 s24, s24, 8
	s_addc_u32 s25, s25, 0
	v_or_b32_e32 v26, v4, v26
	s_cmp_lg_u32 s5, s26
	v_or_b32_e32 v27, v5, v27
	s_cbranch_scc1 .LBB1_59
	s_branch .LBB1_62
.LBB1_60:                               ;   in Loop: Header=BB1_33 Depth=2
                                        ; implicit-def: $vgpr26_vgpr27
                                        ; implicit-def: $sgpr28
	s_branch .LBB1_63
.LBB1_61:                               ;   in Loop: Header=BB1_33 Depth=2
	v_pk_mov_b32 v[26:27], 0, 0
.LBB1_62:                               ;   in Loop: Header=BB1_33 Depth=2
	s_mov_b32 s28, 0
	s_cbranch_execnz .LBB1_64
.LBB1_63:                               ;   in Loop: Header=BB1_33 Depth=2
	global_load_dwordx2 v[26:27], v3, s[0:1]
	s_add_i32 s28, s5, -8
	s_add_u32 s0, s0, 8
	s_addc_u32 s1, s1, 0
.LBB1_64:                               ;   in Loop: Header=BB1_33 Depth=2
	s_cmp_gt_u32 s28, 7
	s_cbranch_scc1 .LBB1_68
; %bb.65:                               ;   in Loop: Header=BB1_33 Depth=2
	s_cmp_eq_u32 s28, 0
	s_cbranch_scc1 .LBB1_69
; %bb.66:                               ;   in Loop: Header=BB1_33 Depth=2
	s_mov_b64 s[24:25], 0
	v_pk_mov_b32 v[28:29], 0, 0
	s_mov_b64 s[26:27], 0
.LBB1_67:                               ;   Parent Loop BB1_3 Depth=1
                                        ;     Parent Loop BB1_33 Depth=2
                                        ; =>    This Inner Loop Header: Depth=3
	s_add_u32 s30, s0, s26
	s_addc_u32 s31, s1, s27
	global_load_ubyte v1, v3, s[30:31]
	s_add_u32 s26, s26, 1
	s_addc_u32 s27, s27, 0
	s_waitcnt vmcnt(0)
	v_and_b32_e32 v2, 0xffff, v1
	v_lshlrev_b64 v[4:5], s24, v[2:3]
	s_add_u32 s24, s24, 8
	s_addc_u32 s25, s25, 0
	v_or_b32_e32 v28, v4, v28
	s_cmp_lg_u32 s28, s26
	v_or_b32_e32 v29, v5, v29
	s_cbranch_scc1 .LBB1_67
	s_branch .LBB1_70
.LBB1_68:                               ;   in Loop: Header=BB1_33 Depth=2
                                        ; implicit-def: $sgpr5
	s_branch .LBB1_71
.LBB1_69:                               ;   in Loop: Header=BB1_33 Depth=2
	v_pk_mov_b32 v[28:29], 0, 0
.LBB1_70:                               ;   in Loop: Header=BB1_33 Depth=2
	s_mov_b32 s5, 0
	s_cbranch_execnz .LBB1_72
.LBB1_71:                               ;   in Loop: Header=BB1_33 Depth=2
	global_load_dwordx2 v[28:29], v3, s[0:1]
	s_add_i32 s5, s28, -8
	s_add_u32 s0, s0, 8
	s_addc_u32 s1, s1, 0
.LBB1_72:                               ;   in Loop: Header=BB1_33 Depth=2
	s_cmp_gt_u32 s5, 7
	s_cbranch_scc1 .LBB1_76
; %bb.73:                               ;   in Loop: Header=BB1_33 Depth=2
	s_cmp_eq_u32 s5, 0
	s_cbranch_scc1 .LBB1_77
; %bb.74:                               ;   in Loop: Header=BB1_33 Depth=2
	s_mov_b64 s[24:25], 0
	v_pk_mov_b32 v[30:31], 0, 0
	s_mov_b64 s[26:27], 0
.LBB1_75:                               ;   Parent Loop BB1_3 Depth=1
                                        ;     Parent Loop BB1_33 Depth=2
                                        ; =>    This Inner Loop Header: Depth=3
	s_add_u32 s28, s0, s26
	s_addc_u32 s29, s1, s27
	global_load_ubyte v1, v3, s[28:29]
	s_add_u32 s26, s26, 1
	s_addc_u32 s27, s27, 0
	s_waitcnt vmcnt(0)
	v_and_b32_e32 v2, 0xffff, v1
	v_lshlrev_b64 v[4:5], s24, v[2:3]
	s_add_u32 s24, s24, 8
	s_addc_u32 s25, s25, 0
	v_or_b32_e32 v30, v4, v30
	s_cmp_lg_u32 s5, s26
	v_or_b32_e32 v31, v5, v31
	s_cbranch_scc1 .LBB1_75
	s_branch .LBB1_78
.LBB1_76:                               ;   in Loop: Header=BB1_33 Depth=2
                                        ; implicit-def: $vgpr30_vgpr31
                                        ; implicit-def: $sgpr28
	s_branch .LBB1_79
.LBB1_77:                               ;   in Loop: Header=BB1_33 Depth=2
	v_pk_mov_b32 v[30:31], 0, 0
.LBB1_78:                               ;   in Loop: Header=BB1_33 Depth=2
	s_mov_b32 s28, 0
	s_cbranch_execnz .LBB1_80
.LBB1_79:                               ;   in Loop: Header=BB1_33 Depth=2
	global_load_dwordx2 v[30:31], v3, s[0:1]
	s_add_i32 s28, s5, -8
	s_add_u32 s0, s0, 8
	s_addc_u32 s1, s1, 0
.LBB1_80:                               ;   in Loop: Header=BB1_33 Depth=2
	s_cmp_gt_u32 s28, 7
	s_cbranch_scc1 .LBB1_84
; %bb.81:                               ;   in Loop: Header=BB1_33 Depth=2
	s_cmp_eq_u32 s28, 0
	s_cbranch_scc1 .LBB1_85
; %bb.82:                               ;   in Loop: Header=BB1_33 Depth=2
	s_mov_b64 s[24:25], 0
	v_pk_mov_b32 v[32:33], 0, 0
	s_mov_b64 s[26:27], s[0:1]
.LBB1_83:                               ;   Parent Loop BB1_3 Depth=1
                                        ;     Parent Loop BB1_33 Depth=2
                                        ; =>    This Inner Loop Header: Depth=3
	global_load_ubyte v1, v3, s[26:27]
	s_add_i32 s28, s28, -1
	s_waitcnt vmcnt(0)
	v_and_b32_e32 v2, 0xffff, v1
	v_lshlrev_b64 v[4:5], s24, v[2:3]
	s_add_u32 s24, s24, 8
	s_addc_u32 s25, s25, 0
	s_add_u32 s26, s26, 1
	s_addc_u32 s27, s27, 0
	v_or_b32_e32 v32, v4, v32
	s_cmp_lg_u32 s28, 0
	v_or_b32_e32 v33, v5, v33
	s_cbranch_scc1 .LBB1_83
	s_branch .LBB1_86
.LBB1_84:                               ;   in Loop: Header=BB1_33 Depth=2
	s_branch .LBB1_87
.LBB1_85:                               ;   in Loop: Header=BB1_33 Depth=2
	v_pk_mov_b32 v[32:33], 0, 0
.LBB1_86:                               ;   in Loop: Header=BB1_33 Depth=2
	s_cbranch_execnz .LBB1_88
.LBB1_87:                               ;   in Loop: Header=BB1_33 Depth=2
	global_load_dwordx2 v[32:33], v3, s[0:1]
.LBB1_88:                               ;   in Loop: Header=BB1_33 Depth=2
	v_readfirstlane_b32 s0, v41
	v_cmp_eq_u32_e64 s[0:1], s0, v41
	v_pk_mov_b32 v[4:5], 0, 0
	s_and_saveexec_b64 s[24:25], s[0:1]
	s_cbranch_execz .LBB1_94
; %bb.89:                               ;   in Loop: Header=BB1_33 Depth=2
	global_load_dwordx2 v[36:37], v3, s[18:19] offset:24 glc
	s_waitcnt vmcnt(0)
	buffer_invl2
	buffer_wbinvl1_vol
	global_load_dwordx2 v[4:5], v3, s[18:19] offset:40
	global_load_dwordx2 v[12:13], v3, s[18:19]
	s_waitcnt vmcnt(1)
	v_and_b32_e32 v1, v4, v36
	v_and_b32_e32 v2, v5, v37
	v_mul_lo_u32 v2, v2, 24
	v_mul_hi_u32 v4, v1, 24
	v_mul_lo_u32 v1, v1, 24
	v_add_u32_e32 v2, v4, v2
	s_waitcnt vmcnt(0)
	v_add_co_u32_e32 v4, vcc, v12, v1
	v_addc_co_u32_e32 v5, vcc, v13, v2, vcc
	global_load_dwordx2 v[34:35], v[4:5], off glc
	s_waitcnt vmcnt(0)
	global_atomic_cmpswap_x2 v[4:5], v3, v[34:37], s[18:19] offset:24 glc
	s_waitcnt vmcnt(0)
	buffer_invl2
	buffer_wbinvl1_vol
	v_cmp_ne_u64_e32 vcc, v[4:5], v[36:37]
	s_and_saveexec_b64 s[26:27], vcc
	s_cbranch_execz .LBB1_93
; %bb.90:                               ;   in Loop: Header=BB1_33 Depth=2
	s_mov_b64 s[28:29], 0
.LBB1_91:                               ;   Parent Loop BB1_3 Depth=1
                                        ;     Parent Loop BB1_33 Depth=2
                                        ; =>    This Inner Loop Header: Depth=3
	s_sleep 1
	global_load_dwordx2 v[12:13], v3, s[18:19] offset:40
	global_load_dwordx2 v[34:35], v3, s[18:19]
	v_pk_mov_b32 v[36:37], v[4:5], v[4:5] op_sel:[0,1]
	s_waitcnt vmcnt(1)
	v_and_b32_e32 v2, v12, v36
	s_waitcnt vmcnt(0)
	v_mad_u64_u32 v[4:5], s[30:31], v2, 24, v[34:35]
	v_and_b32_e32 v1, v13, v37
	v_mov_b32_e32 v2, v5
	v_mad_u64_u32 v[12:13], s[30:31], v1, 24, v[2:3]
	v_mov_b32_e32 v5, v12
	global_load_dwordx2 v[34:35], v[4:5], off glc
	s_waitcnt vmcnt(0)
	global_atomic_cmpswap_x2 v[4:5], v3, v[34:37], s[18:19] offset:24 glc
	s_waitcnt vmcnt(0)
	buffer_invl2
	buffer_wbinvl1_vol
	v_cmp_eq_u64_e32 vcc, v[4:5], v[36:37]
	s_or_b64 s[28:29], vcc, s[28:29]
	s_andn2_b64 exec, exec, s[28:29]
	s_cbranch_execnz .LBB1_91
; %bb.92:                               ;   in Loop: Header=BB1_33 Depth=2
	s_or_b64 exec, exec, s[28:29]
.LBB1_93:                               ;   in Loop: Header=BB1_33 Depth=2
	s_or_b64 exec, exec, s[26:27]
.LBB1_94:                               ;   in Loop: Header=BB1_33 Depth=2
	s_or_b64 exec, exec, s[24:25]
	global_load_dwordx2 v[12:13], v3, s[18:19] offset:40
	global_load_dwordx4 v[34:37], v3, s[18:19]
	v_readfirstlane_b32 s24, v4
	v_readfirstlane_b32 s25, v5
	s_mov_b64 s[26:27], exec
	s_waitcnt vmcnt(1)
	v_readfirstlane_b32 s28, v12
	v_readfirstlane_b32 s29, v13
	s_and_b64 s[28:29], s[24:25], s[28:29]
	s_mul_i32 s5, s29, 24
	s_mul_hi_u32 s30, s28, 24
	s_mul_i32 s31, s28, 24
	s_add_i32 s5, s30, s5
	v_mov_b32_e32 v1, s5
	s_waitcnt vmcnt(0)
	v_add_co_u32_e32 v12, vcc, s31, v34
	v_addc_co_u32_e32 v13, vcc, v35, v1, vcc
	s_and_saveexec_b64 s[30:31], s[0:1]
	s_cbranch_execz .LBB1_96
; %bb.95:                               ;   in Loop: Header=BB1_33 Depth=2
	v_pk_mov_b32 v[4:5], s[26:27], s[26:27] op_sel:[0,1]
	global_store_dwordx4 v[12:13], v[4:7], off offset:8
.LBB1_96:                               ;   in Loop: Header=BB1_33 Depth=2
	s_or_b64 exec, exec, s[30:31]
	s_lshl_b64 s[26:27], s[28:29], 12
	v_mov_b32_e32 v1, s27
	v_add_co_u32_e32 v4, vcc, s26, v36
	v_addc_co_u32_e32 v1, vcc, v37, v1, vcc
	v_or_b32_e32 v2, 0, v19
	v_or_b32_e32 v5, v18, v8
	v_cmp_gt_u64_e64 vcc, s[20:21], 56
	s_lshl_b32 s5, s22, 2
	v_cndmask_b32_e32 v19, v2, v19, vcc
	v_cndmask_b32_e32 v2, v5, v18, vcc
	s_add_i32 s5, s5, 28
	s_and_b32 s5, s5, 0x1e0
	v_and_b32_e32 v2, 0xffffff1f, v2
	v_or_b32_e32 v18, s5, v2
	v_readfirstlane_b32 s26, v4
	v_readfirstlane_b32 s27, v1
	s_nop 4
	global_store_dwordx4 v42, v[18:21], s[26:27]
	global_store_dwordx4 v42, v[22:25], s[26:27] offset:16
	global_store_dwordx4 v42, v[26:29], s[26:27] offset:32
	;; [unrolled: 1-line block ×3, first 2 shown]
	s_and_saveexec_b64 s[26:27], s[0:1]
	s_cbranch_execz .LBB1_104
; %bb.97:                               ;   in Loop: Header=BB1_33 Depth=2
	global_load_dwordx2 v[26:27], v3, s[18:19] offset:32 glc
	global_load_dwordx2 v[18:19], v3, s[18:19] offset:40
	v_mov_b32_e32 v24, s24
	v_mov_b32_e32 v25, s25
	s_waitcnt vmcnt(0)
	v_readfirstlane_b32 s28, v18
	v_readfirstlane_b32 s29, v19
	s_and_b64 s[28:29], s[28:29], s[24:25]
	s_mul_i32 s5, s29, 24
	s_mul_hi_u32 s29, s28, 24
	s_mul_i32 s28, s28, 24
	s_add_i32 s5, s29, s5
	v_mov_b32_e32 v2, s5
	v_add_co_u32_e32 v22, vcc, s28, v34
	v_addc_co_u32_e32 v23, vcc, v35, v2, vcc
	global_store_dwordx2 v[22:23], v[26:27], off
	buffer_wbl2
	s_waitcnt vmcnt(0)
	global_atomic_cmpswap_x2 v[20:21], v3, v[24:27], s[18:19] offset:32 glc
	s_waitcnt vmcnt(0)
	v_cmp_ne_u64_e32 vcc, v[20:21], v[26:27]
	s_and_saveexec_b64 s[28:29], vcc
	s_cbranch_execz .LBB1_100
; %bb.98:                               ;   in Loop: Header=BB1_33 Depth=2
	s_mov_b64 s[30:31], 0
.LBB1_99:                               ;   Parent Loop BB1_3 Depth=1
                                        ;     Parent Loop BB1_33 Depth=2
                                        ; =>    This Inner Loop Header: Depth=3
	s_sleep 1
	global_store_dwordx2 v[22:23], v[20:21], off
	v_mov_b32_e32 v18, s24
	v_mov_b32_e32 v19, s25
	buffer_wbl2
	s_waitcnt vmcnt(0)
	global_atomic_cmpswap_x2 v[18:19], v3, v[18:21], s[18:19] offset:32 glc
	s_waitcnt vmcnt(0)
	v_cmp_eq_u64_e32 vcc, v[18:19], v[20:21]
	s_or_b64 s[30:31], vcc, s[30:31]
	v_pk_mov_b32 v[20:21], v[18:19], v[18:19] op_sel:[0,1]
	s_andn2_b64 exec, exec, s[30:31]
	s_cbranch_execnz .LBB1_99
.LBB1_100:                              ;   in Loop: Header=BB1_33 Depth=2
	s_or_b64 exec, exec, s[28:29]
	global_load_dwordx2 v[18:19], v3, s[18:19] offset:16
	s_mov_b64 s[30:31], exec
	v_mbcnt_lo_u32_b32 v2, s30, 0
	v_mbcnt_hi_u32_b32 v2, s31, v2
	v_cmp_eq_u32_e32 vcc, 0, v2
	s_and_saveexec_b64 s[28:29], vcc
	s_cbranch_execz .LBB1_102
; %bb.101:                              ;   in Loop: Header=BB1_33 Depth=2
	s_bcnt1_i32_b64 s5, s[30:31]
	v_mov_b32_e32 v2, s5
	buffer_wbl2
	s_waitcnt vmcnt(0)
	global_atomic_add_x2 v[18:19], v[2:3], off offset:8
.LBB1_102:                              ;   in Loop: Header=BB1_33 Depth=2
	s_or_b64 exec, exec, s[28:29]
	s_waitcnt vmcnt(0)
	global_load_dwordx2 v[20:21], v[18:19], off offset:16
	s_waitcnt vmcnt(0)
	v_cmp_eq_u64_e32 vcc, 0, v[20:21]
	s_cbranch_vccnz .LBB1_104
; %bb.103:                              ;   in Loop: Header=BB1_33 Depth=2
	global_load_dword v2, v[18:19], off offset:24
	buffer_wbl2
	s_waitcnt vmcnt(0)
	global_store_dwordx2 v[20:21], v[2:3], off
	v_and_b32_e32 v2, 0xffffff, v2
	v_readfirstlane_b32 m0, v2
	s_sendmsg sendmsg(MSG_INTERRUPT)
.LBB1_104:                              ;   in Loop: Header=BB1_33 Depth=2
	s_or_b64 exec, exec, s[26:27]
	v_add_co_u32_e32 v4, vcc, v4, v42
	v_addc_co_u32_e32 v5, vcc, 0, v1, vcc
	s_branch .LBB1_108
.LBB1_105:                              ;   in Loop: Header=BB1_108 Depth=3
	s_or_b64 exec, exec, s[26:27]
	v_readfirstlane_b32 s5, v1
	s_cmp_eq_u32 s5, 0
	s_cbranch_scc1 .LBB1_107
; %bb.106:                              ;   in Loop: Header=BB1_108 Depth=3
	s_sleep 1
	s_cbranch_execnz .LBB1_108
	s_branch .LBB1_110
.LBB1_107:                              ;   in Loop: Header=BB1_33 Depth=2
	s_branch .LBB1_110
.LBB1_108:                              ;   Parent Loop BB1_3 Depth=1
                                        ;     Parent Loop BB1_33 Depth=2
                                        ; =>    This Inner Loop Header: Depth=3
	v_mov_b32_e32 v1, 1
	s_and_saveexec_b64 s[26:27], s[0:1]
	s_cbranch_execz .LBB1_105
; %bb.109:                              ;   in Loop: Header=BB1_108 Depth=3
	global_load_dword v1, v[12:13], off offset:20 glc
	s_waitcnt vmcnt(0)
	buffer_invl2
	buffer_wbinvl1_vol
	v_and_b32_e32 v1, 1, v1
	s_branch .LBB1_105
.LBB1_110:                              ;   in Loop: Header=BB1_33 Depth=2
	global_load_dwordx4 v[18:21], v[4:5], off
	s_and_saveexec_b64 s[26:27], s[0:1]
	s_cbranch_execz .LBB1_32
; %bb.111:                              ;   in Loop: Header=BB1_33 Depth=2
	global_load_dwordx2 v[4:5], v3, s[18:19] offset:40
	global_load_dwordx2 v[12:13], v3, s[18:19] offset:24 glc
	global_load_dwordx2 v[24:25], v3, s[18:19]
	v_mov_b32_e32 v1, s25
	s_waitcnt vmcnt(2)
	v_add_co_u32_e32 v2, vcc, 1, v4
	v_addc_co_u32_e32 v9, vcc, 0, v5, vcc
	v_add_co_u32_e32 v20, vcc, s24, v2
	v_addc_co_u32_e32 v21, vcc, v9, v1, vcc
	v_cmp_eq_u64_e32 vcc, 0, v[20:21]
	v_cndmask_b32_e32 v21, v21, v9, vcc
	v_cndmask_b32_e32 v20, v20, v2, vcc
	v_and_b32_e32 v1, v21, v5
	v_and_b32_e32 v2, v20, v4
	v_mul_lo_u32 v1, v1, 24
	v_mul_hi_u32 v4, v2, 24
	v_mul_lo_u32 v2, v2, 24
	v_add_u32_e32 v1, v4, v1
	s_waitcnt vmcnt(0)
	v_add_co_u32_e32 v4, vcc, v24, v2
	v_addc_co_u32_e32 v5, vcc, v25, v1, vcc
	v_mov_b32_e32 v22, v12
	global_store_dwordx2 v[4:5], v[12:13], off
	v_mov_b32_e32 v23, v13
	buffer_wbl2
	s_waitcnt vmcnt(0)
	global_atomic_cmpswap_x2 v[22:23], v3, v[20:23], s[18:19] offset:24 glc
	s_waitcnt vmcnt(0)
	v_cmp_ne_u64_e32 vcc, v[22:23], v[12:13]
	s_and_b64 exec, exec, vcc
	s_cbranch_execz .LBB1_32
; %bb.112:                              ;   in Loop: Header=BB1_33 Depth=2
	s_mov_b64 s[0:1], 0
.LBB1_113:                              ;   Parent Loop BB1_3 Depth=1
                                        ;     Parent Loop BB1_33 Depth=2
                                        ; =>    This Inner Loop Header: Depth=3
	s_sleep 1
	global_store_dwordx2 v[4:5], v[22:23], off
	buffer_wbl2
	s_waitcnt vmcnt(0)
	global_atomic_cmpswap_x2 v[12:13], v3, v[20:23], s[18:19] offset:24 glc
	s_waitcnt vmcnt(0)
	v_cmp_eq_u64_e32 vcc, v[12:13], v[22:23]
	s_or_b64 s[0:1], vcc, s[0:1]
	v_pk_mov_b32 v[22:23], v[12:13], v[12:13] op_sel:[0,1]
	s_andn2_b64 exec, exec, s[0:1]
	s_cbranch_execnz .LBB1_113
	s_branch .LBB1_32
.LBB1_114:                              ;   in Loop: Header=BB1_3 Depth=1
	s_branch .LBB1_143
.LBB1_115:                              ;   in Loop: Header=BB1_3 Depth=1
                                        ; implicit-def: $vgpr18_vgpr19
	s_cbranch_execz .LBB1_143
; %bb.116:                              ;   in Loop: Header=BB1_3 Depth=1
	v_readfirstlane_b32 s0, v41
	v_cmp_eq_u32_e64 s[0:1], s0, v41
	v_pk_mov_b32 v[4:5], 0, 0
	s_and_saveexec_b64 s[6:7], s[0:1]
	s_cbranch_execz .LBB1_122
; %bb.117:                              ;   in Loop: Header=BB1_3 Depth=1
	global_load_dwordx2 v[20:21], v3, s[18:19] offset:24 glc
	s_waitcnt vmcnt(0)
	buffer_invl2
	buffer_wbinvl1_vol
	global_load_dwordx2 v[4:5], v3, s[18:19] offset:40
	global_load_dwordx2 v[8:9], v3, s[18:19]
	s_waitcnt vmcnt(1)
	v_and_b32_e32 v1, v4, v20
	v_and_b32_e32 v2, v5, v21
	v_mul_lo_u32 v2, v2, 24
	v_mul_hi_u32 v4, v1, 24
	v_mul_lo_u32 v1, v1, 24
	v_add_u32_e32 v2, v4, v2
	s_waitcnt vmcnt(0)
	v_add_co_u32_e32 v4, vcc, v8, v1
	v_addc_co_u32_e32 v5, vcc, v9, v2, vcc
	global_load_dwordx2 v[18:19], v[4:5], off glc
	s_waitcnt vmcnt(0)
	global_atomic_cmpswap_x2 v[4:5], v3, v[18:21], s[18:19] offset:24 glc
	s_waitcnt vmcnt(0)
	buffer_invl2
	buffer_wbinvl1_vol
	v_cmp_ne_u64_e32 vcc, v[4:5], v[20:21]
	s_and_saveexec_b64 s[20:21], vcc
	s_cbranch_execz .LBB1_121
; %bb.118:                              ;   in Loop: Header=BB1_3 Depth=1
	s_mov_b64 s[22:23], 0
.LBB1_119:                              ;   Parent Loop BB1_3 Depth=1
                                        ; =>  This Inner Loop Header: Depth=2
	s_sleep 1
	global_load_dwordx2 v[8:9], v3, s[18:19] offset:40
	global_load_dwordx2 v[12:13], v3, s[18:19]
	v_pk_mov_b32 v[20:21], v[4:5], v[4:5] op_sel:[0,1]
	s_waitcnt vmcnt(1)
	v_and_b32_e32 v2, v8, v20
	s_waitcnt vmcnt(0)
	v_mad_u64_u32 v[4:5], s[24:25], v2, 24, v[12:13]
	v_and_b32_e32 v1, v9, v21
	v_mov_b32_e32 v2, v5
	v_mad_u64_u32 v[8:9], s[24:25], v1, 24, v[2:3]
	v_mov_b32_e32 v5, v8
	global_load_dwordx2 v[18:19], v[4:5], off glc
	s_waitcnt vmcnt(0)
	global_atomic_cmpswap_x2 v[4:5], v3, v[18:21], s[18:19] offset:24 glc
	s_waitcnt vmcnt(0)
	buffer_invl2
	buffer_wbinvl1_vol
	v_cmp_eq_u64_e32 vcc, v[4:5], v[20:21]
	s_or_b64 s[22:23], vcc, s[22:23]
	s_andn2_b64 exec, exec, s[22:23]
	s_cbranch_execnz .LBB1_119
; %bb.120:                              ;   in Loop: Header=BB1_3 Depth=1
	s_or_b64 exec, exec, s[22:23]
.LBB1_121:                              ;   in Loop: Header=BB1_3 Depth=1
	s_or_b64 exec, exec, s[20:21]
.LBB1_122:                              ;   in Loop: Header=BB1_3 Depth=1
	s_or_b64 exec, exec, s[6:7]
	global_load_dwordx2 v[8:9], v3, s[18:19] offset:40
	global_load_dwordx4 v[20:23], v3, s[18:19]
	v_readfirstlane_b32 s20, v4
	v_readfirstlane_b32 s21, v5
	s_mov_b64 s[6:7], exec
	s_waitcnt vmcnt(1)
	v_readfirstlane_b32 s22, v8
	v_readfirstlane_b32 s23, v9
	s_and_b64 s[22:23], s[20:21], s[22:23]
	s_mul_i32 s5, s23, 24
	s_mul_hi_u32 s24, s22, 24
	s_mul_i32 s25, s22, 24
	s_add_i32 s5, s24, s5
	v_mov_b32_e32 v1, s5
	s_waitcnt vmcnt(0)
	v_add_co_u32_e32 v8, vcc, s25, v20
	v_addc_co_u32_e32 v9, vcc, v21, v1, vcc
	s_and_saveexec_b64 s[24:25], s[0:1]
	s_cbranch_execz .LBB1_124
; %bb.123:                              ;   in Loop: Header=BB1_3 Depth=1
	v_pk_mov_b32 v[4:5], s[6:7], s[6:7] op_sel:[0,1]
	global_store_dwordx4 v[8:9], v[4:7], off offset:8
.LBB1_124:                              ;   in Loop: Header=BB1_3 Depth=1
	s_or_b64 exec, exec, s[24:25]
	s_lshl_b64 s[6:7], s[22:23], 12
	v_mov_b32_e32 v1, s7
	v_add_co_u32_e32 v4, vcc, s6, v22
	v_addc_co_u32_e32 v1, vcc, v23, v1, vcc
	v_and_or_b32 v16, v16, s11, 32
	v_mov_b32_e32 v18, v3
	v_mov_b32_e32 v19, v3
	v_readfirstlane_b32 s22, v4
	v_readfirstlane_b32 s23, v1
	s_mov_b32 s6, s4
	s_mov_b32 s7, s4
	;; [unrolled: 1-line block ×3, first 2 shown]
	s_nop 1
	global_store_dwordx4 v42, v[16:19], s[22:23]
	s_nop 0
	v_pk_mov_b32 v[18:19], s[6:7], s[6:7] op_sel:[0,1]
	v_pk_mov_b32 v[16:17], s[4:5], s[4:5] op_sel:[0,1]
	global_store_dwordx4 v42, v[16:19], s[22:23] offset:16
	global_store_dwordx4 v42, v[16:19], s[22:23] offset:32
	;; [unrolled: 1-line block ×3, first 2 shown]
	s_and_saveexec_b64 s[6:7], s[0:1]
	s_cbranch_execz .LBB1_132
; %bb.125:                              ;   in Loop: Header=BB1_3 Depth=1
	global_load_dwordx2 v[24:25], v3, s[18:19] offset:32 glc
	global_load_dwordx2 v[12:13], v3, s[18:19] offset:40
	v_mov_b32_e32 v22, s20
	v_mov_b32_e32 v23, s21
	s_waitcnt vmcnt(0)
	v_readfirstlane_b32 s22, v12
	v_readfirstlane_b32 s23, v13
	s_and_b64 s[22:23], s[22:23], s[20:21]
	s_mul_i32 s5, s23, 24
	s_mul_hi_u32 s23, s22, 24
	s_mul_i32 s22, s22, 24
	s_add_i32 s5, s23, s5
	v_mov_b32_e32 v2, s5
	v_add_co_u32_e32 v12, vcc, s22, v20
	v_addc_co_u32_e32 v13, vcc, v21, v2, vcc
	global_store_dwordx2 v[12:13], v[24:25], off
	buffer_wbl2
	s_waitcnt vmcnt(0)
	global_atomic_cmpswap_x2 v[18:19], v3, v[22:25], s[18:19] offset:32 glc
	s_waitcnt vmcnt(0)
	v_cmp_ne_u64_e32 vcc, v[18:19], v[24:25]
	s_and_saveexec_b64 s[22:23], vcc
	s_cbranch_execz .LBB1_128
; %bb.126:                              ;   in Loop: Header=BB1_3 Depth=1
	s_mov_b64 s[24:25], 0
.LBB1_127:                              ;   Parent Loop BB1_3 Depth=1
                                        ; =>  This Inner Loop Header: Depth=2
	s_sleep 1
	global_store_dwordx2 v[12:13], v[18:19], off
	v_mov_b32_e32 v16, s20
	v_mov_b32_e32 v17, s21
	buffer_wbl2
	s_waitcnt vmcnt(0)
	global_atomic_cmpswap_x2 v[16:17], v3, v[16:19], s[18:19] offset:32 glc
	s_waitcnt vmcnt(0)
	v_cmp_eq_u64_e32 vcc, v[16:17], v[18:19]
	s_or_b64 s[24:25], vcc, s[24:25]
	v_pk_mov_b32 v[18:19], v[16:17], v[16:17] op_sel:[0,1]
	s_andn2_b64 exec, exec, s[24:25]
	s_cbranch_execnz .LBB1_127
.LBB1_128:                              ;   in Loop: Header=BB1_3 Depth=1
	s_or_b64 exec, exec, s[22:23]
	global_load_dwordx2 v[12:13], v3, s[18:19] offset:16
	s_mov_b64 s[24:25], exec
	v_mbcnt_lo_u32_b32 v2, s24, 0
	v_mbcnt_hi_u32_b32 v2, s25, v2
	v_cmp_eq_u32_e32 vcc, 0, v2
	s_and_saveexec_b64 s[22:23], vcc
	s_cbranch_execz .LBB1_130
; %bb.129:                              ;   in Loop: Header=BB1_3 Depth=1
	s_bcnt1_i32_b64 s5, s[24:25]
	v_mov_b32_e32 v2, s5
	buffer_wbl2
	s_waitcnt vmcnt(0)
	global_atomic_add_x2 v[12:13], v[2:3], off offset:8
.LBB1_130:                              ;   in Loop: Header=BB1_3 Depth=1
	s_or_b64 exec, exec, s[22:23]
	s_waitcnt vmcnt(0)
	global_load_dwordx2 v[16:17], v[12:13], off offset:16
	s_waitcnt vmcnt(0)
	v_cmp_eq_u64_e32 vcc, 0, v[16:17]
	s_cbranch_vccnz .LBB1_132
; %bb.131:                              ;   in Loop: Header=BB1_3 Depth=1
	global_load_dword v2, v[12:13], off offset:24
	buffer_wbl2
	s_waitcnt vmcnt(0)
	global_store_dwordx2 v[16:17], v[2:3], off
	v_and_b32_e32 v2, 0xffffff, v2
	v_readfirstlane_b32 m0, v2
	s_sendmsg sendmsg(MSG_INTERRUPT)
.LBB1_132:                              ;   in Loop: Header=BB1_3 Depth=1
	s_or_b64 exec, exec, s[6:7]
	v_add_co_u32_e32 v4, vcc, v4, v42
	v_addc_co_u32_e32 v5, vcc, 0, v1, vcc
	s_branch .LBB1_136
.LBB1_133:                              ;   in Loop: Header=BB1_136 Depth=2
	s_or_b64 exec, exec, s[6:7]
	v_readfirstlane_b32 s5, v1
	s_cmp_eq_u32 s5, 0
	s_cbranch_scc1 .LBB1_135
; %bb.134:                              ;   in Loop: Header=BB1_136 Depth=2
	s_sleep 1
	s_cbranch_execnz .LBB1_136
	s_branch .LBB1_138
.LBB1_135:                              ;   in Loop: Header=BB1_3 Depth=1
	s_branch .LBB1_138
.LBB1_136:                              ;   Parent Loop BB1_3 Depth=1
                                        ; =>  This Inner Loop Header: Depth=2
	v_mov_b32_e32 v1, 1
	s_and_saveexec_b64 s[6:7], s[0:1]
	s_cbranch_execz .LBB1_133
; %bb.137:                              ;   in Loop: Header=BB1_136 Depth=2
	global_load_dword v1, v[8:9], off offset:20 glc
	s_waitcnt vmcnt(0)
	buffer_invl2
	buffer_wbinvl1_vol
	v_and_b32_e32 v1, 1, v1
	s_branch .LBB1_133
.LBB1_138:                              ;   in Loop: Header=BB1_3 Depth=1
	global_load_dwordx2 v[18:19], v[4:5], off
	s_and_saveexec_b64 s[6:7], s[0:1]
	s_cbranch_execz .LBB1_142
; %bb.139:                              ;   in Loop: Header=BB1_3 Depth=1
	global_load_dwordx2 v[4:5], v3, s[18:19] offset:40
	global_load_dwordx2 v[8:9], v3, s[18:19] offset:24 glc
	global_load_dwordx2 v[12:13], v3, s[18:19]
	v_mov_b32_e32 v1, s21
	s_waitcnt vmcnt(2)
	v_add_co_u32_e32 v2, vcc, 1, v4
	v_addc_co_u32_e32 v11, vcc, 0, v5, vcc
	v_add_co_u32_e32 v16, vcc, s20, v2
	v_addc_co_u32_e32 v17, vcc, v11, v1, vcc
	v_cmp_eq_u64_e32 vcc, 0, v[16:17]
	v_cndmask_b32_e32 v21, v17, v11, vcc
	v_cndmask_b32_e32 v20, v16, v2, vcc
	v_and_b32_e32 v1, v21, v5
	v_and_b32_e32 v2, v20, v4
	v_mul_lo_u32 v1, v1, 24
	v_mul_hi_u32 v4, v2, 24
	v_mul_lo_u32 v2, v2, 24
	v_add_u32_e32 v1, v4, v1
	s_waitcnt vmcnt(0)
	v_add_co_u32_e32 v4, vcc, v12, v2
	v_addc_co_u32_e32 v5, vcc, v13, v1, vcc
	v_mov_b32_e32 v22, v8
	global_store_dwordx2 v[4:5], v[8:9], off
	v_mov_b32_e32 v23, v9
	buffer_wbl2
	s_waitcnt vmcnt(0)
	global_atomic_cmpswap_x2 v[22:23], v3, v[20:23], s[18:19] offset:24 glc
	s_waitcnt vmcnt(0)
	v_cmp_ne_u64_e32 vcc, v[22:23], v[8:9]
	s_and_b64 exec, exec, vcc
	s_cbranch_execz .LBB1_142
; %bb.140:                              ;   in Loop: Header=BB1_3 Depth=1
	s_mov_b64 s[0:1], 0
.LBB1_141:                              ;   Parent Loop BB1_3 Depth=1
                                        ; =>  This Inner Loop Header: Depth=2
	s_sleep 1
	global_store_dwordx2 v[4:5], v[22:23], off
	buffer_wbl2
	s_waitcnt vmcnt(0)
	global_atomic_cmpswap_x2 v[8:9], v3, v[20:23], s[18:19] offset:24 glc
	s_waitcnt vmcnt(0)
	v_cmp_eq_u64_e32 vcc, v[8:9], v[22:23]
	s_or_b64 s[0:1], vcc, s[0:1]
	v_pk_mov_b32 v[22:23], v[8:9], v[8:9] op_sel:[0,1]
	s_andn2_b64 exec, exec, s[0:1]
	s_cbranch_execnz .LBB1_141
.LBB1_142:                              ;   in Loop: Header=BB1_3 Depth=1
	s_or_b64 exec, exec, s[6:7]
.LBB1_143:                              ;   in Loop: Header=BB1_3 Depth=1
	v_readfirstlane_b32 s0, v41
	v_cmp_eq_u32_e64 s[0:1], s0, v41
	v_pk_mov_b32 v[4:5], 0, 0
	s_and_saveexec_b64 s[6:7], s[0:1]
	s_cbranch_execz .LBB1_149
; %bb.144:                              ;   in Loop: Header=BB1_3 Depth=1
	global_load_dwordx2 v[22:23], v3, s[18:19] offset:24 glc
	s_waitcnt vmcnt(0)
	buffer_invl2
	buffer_wbinvl1_vol
	global_load_dwordx2 v[4:5], v3, s[18:19] offset:40
	global_load_dwordx2 v[8:9], v3, s[18:19]
	s_waitcnt vmcnt(1)
	v_and_b32_e32 v1, v4, v22
	v_and_b32_e32 v2, v5, v23
	v_mul_lo_u32 v2, v2, 24
	v_mul_hi_u32 v4, v1, 24
	v_mul_lo_u32 v1, v1, 24
	v_add_u32_e32 v2, v4, v2
	s_waitcnt vmcnt(0)
	v_add_co_u32_e32 v4, vcc, v8, v1
	v_addc_co_u32_e32 v5, vcc, v9, v2, vcc
	global_load_dwordx2 v[20:21], v[4:5], off glc
	s_waitcnt vmcnt(0)
	global_atomic_cmpswap_x2 v[4:5], v3, v[20:23], s[18:19] offset:24 glc
	s_waitcnt vmcnt(0)
	buffer_invl2
	buffer_wbinvl1_vol
	v_cmp_ne_u64_e32 vcc, v[4:5], v[22:23]
	s_and_saveexec_b64 s[20:21], vcc
	s_cbranch_execz .LBB1_148
; %bb.145:                              ;   in Loop: Header=BB1_3 Depth=1
	s_mov_b64 s[22:23], 0
.LBB1_146:                              ;   Parent Loop BB1_3 Depth=1
                                        ; =>  This Inner Loop Header: Depth=2
	s_sleep 1
	global_load_dwordx2 v[8:9], v3, s[18:19] offset:40
	global_load_dwordx2 v[12:13], v3, s[18:19]
	v_pk_mov_b32 v[22:23], v[4:5], v[4:5] op_sel:[0,1]
	s_waitcnt vmcnt(1)
	v_and_b32_e32 v2, v8, v22
	s_waitcnt vmcnt(0)
	v_mad_u64_u32 v[4:5], s[24:25], v2, 24, v[12:13]
	v_and_b32_e32 v1, v9, v23
	v_mov_b32_e32 v2, v5
	v_mad_u64_u32 v[8:9], s[24:25], v1, 24, v[2:3]
	v_mov_b32_e32 v5, v8
	global_load_dwordx2 v[20:21], v[4:5], off glc
	s_waitcnt vmcnt(0)
	global_atomic_cmpswap_x2 v[4:5], v3, v[20:23], s[18:19] offset:24 glc
	s_waitcnt vmcnt(0)
	buffer_invl2
	buffer_wbinvl1_vol
	v_cmp_eq_u64_e32 vcc, v[4:5], v[22:23]
	s_or_b64 s[22:23], vcc, s[22:23]
	s_andn2_b64 exec, exec, s[22:23]
	s_cbranch_execnz .LBB1_146
; %bb.147:                              ;   in Loop: Header=BB1_3 Depth=1
	s_or_b64 exec, exec, s[22:23]
.LBB1_148:                              ;   in Loop: Header=BB1_3 Depth=1
	s_or_b64 exec, exec, s[20:21]
.LBB1_149:                              ;   in Loop: Header=BB1_3 Depth=1
	s_or_b64 exec, exec, s[6:7]
	global_load_dwordx2 v[8:9], v3, s[18:19] offset:40
	global_load_dwordx4 v[22:25], v3, s[18:19]
	v_readfirstlane_b32 s20, v4
	v_readfirstlane_b32 s21, v5
	s_mov_b64 s[6:7], exec
	s_waitcnt vmcnt(1)
	v_readfirstlane_b32 s22, v8
	v_readfirstlane_b32 s23, v9
	s_and_b64 s[22:23], s[20:21], s[22:23]
	s_mul_i32 s5, s23, 24
	s_mul_hi_u32 s24, s22, 24
	s_mul_i32 s25, s22, 24
	s_add_i32 s5, s24, s5
	v_mov_b32_e32 v1, s5
	s_waitcnt vmcnt(0)
	v_add_co_u32_e32 v8, vcc, s25, v22
	v_addc_co_u32_e32 v9, vcc, v23, v1, vcc
	s_and_saveexec_b64 s[24:25], s[0:1]
	s_cbranch_execz .LBB1_151
; %bb.150:                              ;   in Loop: Header=BB1_3 Depth=1
	v_pk_mov_b32 v[4:5], s[6:7], s[6:7] op_sel:[0,1]
	global_store_dwordx4 v[8:9], v[4:7], off offset:8
.LBB1_151:                              ;   in Loop: Header=BB1_3 Depth=1
	s_or_b64 exec, exec, s[24:25]
	s_lshl_b64 s[6:7], s[22:23], 12
	v_mov_b32_e32 v1, s7
	v_add_co_u32_e32 v4, vcc, s6, v24
	v_addc_co_u32_e32 v1, vcc, v25, v1, vcc
	v_and_or_b32 v18, v18, s11, 32
	v_mov_b32_e32 v20, v38
	v_mov_b32_e32 v21, v3
	v_readfirstlane_b32 s22, v4
	v_readfirstlane_b32 s23, v1
	s_mov_b32 s6, s4
	s_mov_b32 s7, s4
	s_mov_b32 s5, s4
	s_nop 1
	global_store_dwordx4 v42, v[18:21], s[22:23]
	s_nop 0
	v_pk_mov_b32 v[18:19], s[6:7], s[6:7] op_sel:[0,1]
	v_pk_mov_b32 v[16:17], s[4:5], s[4:5] op_sel:[0,1]
	global_store_dwordx4 v42, v[16:19], s[22:23] offset:16
	global_store_dwordx4 v42, v[16:19], s[22:23] offset:32
	;; [unrolled: 1-line block ×3, first 2 shown]
	s_and_saveexec_b64 s[6:7], s[0:1]
	s_cbranch_execz .LBB1_159
; %bb.152:                              ;   in Loop: Header=BB1_3 Depth=1
	global_load_dwordx2 v[20:21], v3, s[18:19] offset:32 glc
	global_load_dwordx2 v[12:13], v3, s[18:19] offset:40
	v_mov_b32_e32 v18, s20
	v_mov_b32_e32 v19, s21
	s_waitcnt vmcnt(0)
	v_readfirstlane_b32 s22, v12
	v_readfirstlane_b32 s23, v13
	s_and_b64 s[22:23], s[22:23], s[20:21]
	s_mul_i32 s5, s23, 24
	s_mul_hi_u32 s23, s22, 24
	s_mul_i32 s22, s22, 24
	s_add_i32 s5, s23, s5
	v_mov_b32_e32 v2, s5
	v_add_co_u32_e32 v12, vcc, s22, v22
	v_addc_co_u32_e32 v13, vcc, v23, v2, vcc
	global_store_dwordx2 v[12:13], v[20:21], off
	buffer_wbl2
	s_waitcnt vmcnt(0)
	global_atomic_cmpswap_x2 v[18:19], v3, v[18:21], s[18:19] offset:32 glc
	s_waitcnt vmcnt(0)
	v_cmp_ne_u64_e32 vcc, v[18:19], v[20:21]
	s_and_saveexec_b64 s[22:23], vcc
	s_cbranch_execz .LBB1_155
; %bb.153:                              ;   in Loop: Header=BB1_3 Depth=1
	s_mov_b64 s[24:25], 0
.LBB1_154:                              ;   Parent Loop BB1_3 Depth=1
                                        ; =>  This Inner Loop Header: Depth=2
	s_sleep 1
	global_store_dwordx2 v[12:13], v[18:19], off
	v_mov_b32_e32 v16, s20
	v_mov_b32_e32 v17, s21
	buffer_wbl2
	s_waitcnt vmcnt(0)
	global_atomic_cmpswap_x2 v[16:17], v3, v[16:19], s[18:19] offset:32 glc
	s_waitcnt vmcnt(0)
	v_cmp_eq_u64_e32 vcc, v[16:17], v[18:19]
	s_or_b64 s[24:25], vcc, s[24:25]
	v_pk_mov_b32 v[18:19], v[16:17], v[16:17] op_sel:[0,1]
	s_andn2_b64 exec, exec, s[24:25]
	s_cbranch_execnz .LBB1_154
.LBB1_155:                              ;   in Loop: Header=BB1_3 Depth=1
	s_or_b64 exec, exec, s[22:23]
	global_load_dwordx2 v[12:13], v3, s[18:19] offset:16
	s_mov_b64 s[24:25], exec
	v_mbcnt_lo_u32_b32 v2, s24, 0
	v_mbcnt_hi_u32_b32 v2, s25, v2
	v_cmp_eq_u32_e32 vcc, 0, v2
	s_and_saveexec_b64 s[22:23], vcc
	s_cbranch_execz .LBB1_157
; %bb.156:                              ;   in Loop: Header=BB1_3 Depth=1
	s_bcnt1_i32_b64 s5, s[24:25]
	v_mov_b32_e32 v2, s5
	buffer_wbl2
	s_waitcnt vmcnt(0)
	global_atomic_add_x2 v[12:13], v[2:3], off offset:8
.LBB1_157:                              ;   in Loop: Header=BB1_3 Depth=1
	s_or_b64 exec, exec, s[22:23]
	s_waitcnt vmcnt(0)
	global_load_dwordx2 v[16:17], v[12:13], off offset:16
	s_waitcnt vmcnt(0)
	v_cmp_eq_u64_e32 vcc, 0, v[16:17]
	s_cbranch_vccnz .LBB1_159
; %bb.158:                              ;   in Loop: Header=BB1_3 Depth=1
	global_load_dword v2, v[12:13], off offset:24
	buffer_wbl2
	s_waitcnt vmcnt(0)
	global_store_dwordx2 v[16:17], v[2:3], off
	v_and_b32_e32 v2, 0xffffff, v2
	v_readfirstlane_b32 m0, v2
	s_sendmsg sendmsg(MSG_INTERRUPT)
.LBB1_159:                              ;   in Loop: Header=BB1_3 Depth=1
	s_or_b64 exec, exec, s[6:7]
	v_add_co_u32_e32 v4, vcc, v4, v42
	v_addc_co_u32_e32 v5, vcc, 0, v1, vcc
	s_branch .LBB1_163
.LBB1_160:                              ;   in Loop: Header=BB1_163 Depth=2
	s_or_b64 exec, exec, s[6:7]
	v_readfirstlane_b32 s5, v1
	s_cmp_eq_u32 s5, 0
	s_cbranch_scc1 .LBB1_162
; %bb.161:                              ;   in Loop: Header=BB1_163 Depth=2
	s_sleep 1
	s_cbranch_execnz .LBB1_163
	s_branch .LBB1_165
.LBB1_162:                              ;   in Loop: Header=BB1_3 Depth=1
	s_branch .LBB1_165
.LBB1_163:                              ;   Parent Loop BB1_3 Depth=1
                                        ; =>  This Inner Loop Header: Depth=2
	v_mov_b32_e32 v1, 1
	s_and_saveexec_b64 s[6:7], s[0:1]
	s_cbranch_execz .LBB1_160
; %bb.164:                              ;   in Loop: Header=BB1_163 Depth=2
	global_load_dword v1, v[8:9], off offset:20 glc
	s_waitcnt vmcnt(0)
	buffer_invl2
	buffer_wbinvl1_vol
	v_and_b32_e32 v1, 1, v1
	s_branch .LBB1_160
.LBB1_165:                              ;   in Loop: Header=BB1_3 Depth=1
	global_load_dwordx2 v[12:13], v[4:5], off
	s_and_saveexec_b64 s[6:7], s[0:1]
	s_cbranch_execz .LBB1_169
; %bb.166:                              ;   in Loop: Header=BB1_3 Depth=1
	global_load_dwordx2 v[4:5], v3, s[18:19] offset:40
	global_load_dwordx2 v[8:9], v3, s[18:19] offset:24 glc
	global_load_dwordx2 v[20:21], v3, s[18:19]
	v_mov_b32_e32 v1, s21
	s_waitcnt vmcnt(2)
	v_add_co_u32_e32 v2, vcc, 1, v4
	v_addc_co_u32_e32 v11, vcc, 0, v5, vcc
	v_add_co_u32_e32 v16, vcc, s20, v2
	v_addc_co_u32_e32 v17, vcc, v11, v1, vcc
	v_cmp_eq_u64_e32 vcc, 0, v[16:17]
	v_cndmask_b32_e32 v17, v17, v11, vcc
	v_cndmask_b32_e32 v16, v16, v2, vcc
	v_and_b32_e32 v1, v17, v5
	v_and_b32_e32 v2, v16, v4
	v_mul_lo_u32 v1, v1, 24
	v_mul_hi_u32 v4, v2, 24
	v_mul_lo_u32 v2, v2, 24
	v_add_u32_e32 v1, v4, v1
	s_waitcnt vmcnt(0)
	v_add_co_u32_e32 v4, vcc, v20, v2
	v_addc_co_u32_e32 v5, vcc, v21, v1, vcc
	v_mov_b32_e32 v18, v8
	global_store_dwordx2 v[4:5], v[8:9], off
	v_mov_b32_e32 v19, v9
	buffer_wbl2
	s_waitcnt vmcnt(0)
	global_atomic_cmpswap_x2 v[18:19], v3, v[16:19], s[18:19] offset:24 glc
	s_waitcnt vmcnt(0)
	v_cmp_ne_u64_e32 vcc, v[18:19], v[8:9]
	s_and_b64 exec, exec, vcc
	s_cbranch_execz .LBB1_169
; %bb.167:                              ;   in Loop: Header=BB1_3 Depth=1
	s_mov_b64 s[0:1], 0
.LBB1_168:                              ;   Parent Loop BB1_3 Depth=1
                                        ; =>  This Inner Loop Header: Depth=2
	s_sleep 1
	global_store_dwordx2 v[4:5], v[18:19], off
	buffer_wbl2
	s_waitcnt vmcnt(0)
	global_atomic_cmpswap_x2 v[8:9], v3, v[16:19], s[18:19] offset:24 glc
	s_waitcnt vmcnt(0)
	v_cmp_eq_u64_e32 vcc, v[8:9], v[18:19]
	s_or_b64 s[0:1], vcc, s[0:1]
	v_pk_mov_b32 v[18:19], v[8:9], v[8:9] op_sel:[0,1]
	s_andn2_b64 exec, exec, s[0:1]
	s_cbranch_execnz .LBB1_168
.LBB1_169:                              ;   in Loop: Header=BB1_3 Depth=1
	s_or_b64 exec, exec, s[6:7]
	v_readfirstlane_b32 s0, v41
	v_cmp_eq_u32_e64 s[0:1], s0, v41
	v_pk_mov_b32 v[4:5], 0, 0
	s_and_saveexec_b64 s[6:7], s[0:1]
	s_cbranch_execz .LBB1_175
; %bb.170:                              ;   in Loop: Header=BB1_3 Depth=1
	global_load_dwordx2 v[18:19], v3, s[18:19] offset:24 glc
	s_waitcnt vmcnt(0)
	buffer_invl2
	buffer_wbinvl1_vol
	global_load_dwordx2 v[4:5], v3, s[18:19] offset:40
	global_load_dwordx2 v[8:9], v3, s[18:19]
	s_waitcnt vmcnt(1)
	v_and_b32_e32 v1, v4, v18
	v_and_b32_e32 v2, v5, v19
	v_mul_lo_u32 v2, v2, 24
	v_mul_hi_u32 v4, v1, 24
	v_mul_lo_u32 v1, v1, 24
	v_add_u32_e32 v2, v4, v2
	s_waitcnt vmcnt(0)
	v_add_co_u32_e32 v4, vcc, v8, v1
	v_addc_co_u32_e32 v5, vcc, v9, v2, vcc
	global_load_dwordx2 v[16:17], v[4:5], off glc
	s_waitcnt vmcnt(0)
	global_atomic_cmpswap_x2 v[4:5], v3, v[16:19], s[18:19] offset:24 glc
	s_waitcnt vmcnt(0)
	buffer_invl2
	buffer_wbinvl1_vol
	v_cmp_ne_u64_e32 vcc, v[4:5], v[18:19]
	s_and_saveexec_b64 s[20:21], vcc
	s_cbranch_execz .LBB1_174
; %bb.171:                              ;   in Loop: Header=BB1_3 Depth=1
	s_mov_b64 s[22:23], 0
.LBB1_172:                              ;   Parent Loop BB1_3 Depth=1
                                        ; =>  This Inner Loop Header: Depth=2
	s_sleep 1
	global_load_dwordx2 v[8:9], v3, s[18:19] offset:40
	global_load_dwordx2 v[16:17], v3, s[18:19]
	v_pk_mov_b32 v[18:19], v[4:5], v[4:5] op_sel:[0,1]
	s_waitcnt vmcnt(1)
	v_and_b32_e32 v2, v8, v18
	s_waitcnt vmcnt(0)
	v_mad_u64_u32 v[4:5], s[24:25], v2, 24, v[16:17]
	v_and_b32_e32 v1, v9, v19
	v_mov_b32_e32 v2, v5
	v_mad_u64_u32 v[8:9], s[24:25], v1, 24, v[2:3]
	v_mov_b32_e32 v5, v8
	global_load_dwordx2 v[16:17], v[4:5], off glc
	s_waitcnt vmcnt(0)
	global_atomic_cmpswap_x2 v[4:5], v3, v[16:19], s[18:19] offset:24 glc
	s_waitcnt vmcnt(0)
	buffer_invl2
	buffer_wbinvl1_vol
	v_cmp_eq_u64_e32 vcc, v[4:5], v[18:19]
	s_or_b64 s[22:23], vcc, s[22:23]
	s_andn2_b64 exec, exec, s[22:23]
	s_cbranch_execnz .LBB1_172
; %bb.173:                              ;   in Loop: Header=BB1_3 Depth=1
	s_or_b64 exec, exec, s[22:23]
.LBB1_174:                              ;   in Loop: Header=BB1_3 Depth=1
	s_or_b64 exec, exec, s[20:21]
.LBB1_175:                              ;   in Loop: Header=BB1_3 Depth=1
	s_or_b64 exec, exec, s[6:7]
	global_load_dwordx2 v[8:9], v3, s[18:19] offset:40
	global_load_dwordx4 v[16:19], v3, s[18:19]
	v_readfirstlane_b32 s20, v4
	v_readfirstlane_b32 s21, v5
	s_mov_b64 s[6:7], exec
	s_waitcnt vmcnt(1)
	v_readfirstlane_b32 s22, v8
	v_readfirstlane_b32 s23, v9
	s_and_b64 s[22:23], s[20:21], s[22:23]
	s_mul_i32 s5, s23, 24
	s_mul_hi_u32 s24, s22, 24
	s_mul_i32 s25, s22, 24
	s_add_i32 s5, s24, s5
	v_mov_b32_e32 v1, s5
	s_waitcnt vmcnt(0)
	v_add_co_u32_e32 v8, vcc, s25, v16
	v_addc_co_u32_e32 v9, vcc, v17, v1, vcc
	s_and_saveexec_b64 s[24:25], s[0:1]
	s_cbranch_execz .LBB1_177
; %bb.176:                              ;   in Loop: Header=BB1_3 Depth=1
	v_pk_mov_b32 v[4:5], s[6:7], s[6:7] op_sel:[0,1]
	global_store_dwordx4 v[8:9], v[4:7], off offset:8
.LBB1_177:                              ;   in Loop: Header=BB1_3 Depth=1
	s_or_b64 exec, exec, s[24:25]
	s_lshl_b64 s[6:7], s[22:23], 12
	v_mov_b32_e32 v1, s7
	v_add_co_u32_e32 v4, vcc, s6, v18
	v_addc_co_u32_e32 v1, vcc, v19, v1, vcc
	v_and_or_b32 v12, v12, s11, 32
	v_mov_b32_e32 v15, v3
	v_readfirstlane_b32 s22, v4
	v_readfirstlane_b32 s23, v1
	s_mov_b32 s6, s4
	s_mov_b32 s7, s4
	;; [unrolled: 1-line block ×3, first 2 shown]
	s_nop 1
	global_store_dwordx4 v42, v[12:15], s[22:23]
	s_nop 0
	v_pk_mov_b32 v[14:15], s[6:7], s[6:7] op_sel:[0,1]
	v_pk_mov_b32 v[12:13], s[4:5], s[4:5] op_sel:[0,1]
	global_store_dwordx4 v42, v[12:15], s[22:23] offset:16
	global_store_dwordx4 v42, v[12:15], s[22:23] offset:32
	;; [unrolled: 1-line block ×3, first 2 shown]
	s_and_saveexec_b64 s[6:7], s[0:1]
	s_cbranch_execz .LBB1_185
; %bb.178:                              ;   in Loop: Header=BB1_3 Depth=1
	global_load_dwordx2 v[20:21], v3, s[18:19] offset:32 glc
	global_load_dwordx2 v[12:13], v3, s[18:19] offset:40
	v_mov_b32_e32 v18, s20
	v_mov_b32_e32 v19, s21
	s_waitcnt vmcnt(0)
	v_readfirstlane_b32 s22, v12
	v_readfirstlane_b32 s23, v13
	s_and_b64 s[22:23], s[22:23], s[20:21]
	s_mul_i32 s5, s23, 24
	s_mul_hi_u32 s23, s22, 24
	s_mul_i32 s22, s22, 24
	s_add_i32 s5, s23, s5
	v_mov_b32_e32 v2, s5
	v_add_co_u32_e32 v16, vcc, s22, v16
	v_addc_co_u32_e32 v17, vcc, v17, v2, vcc
	global_store_dwordx2 v[16:17], v[20:21], off
	buffer_wbl2
	s_waitcnt vmcnt(0)
	global_atomic_cmpswap_x2 v[14:15], v3, v[18:21], s[18:19] offset:32 glc
	s_waitcnt vmcnt(0)
	v_cmp_ne_u64_e32 vcc, v[14:15], v[20:21]
	s_and_saveexec_b64 s[22:23], vcc
	s_cbranch_execz .LBB1_181
; %bb.179:                              ;   in Loop: Header=BB1_3 Depth=1
	s_mov_b64 s[24:25], 0
.LBB1_180:                              ;   Parent Loop BB1_3 Depth=1
                                        ; =>  This Inner Loop Header: Depth=2
	s_sleep 1
	global_store_dwordx2 v[16:17], v[14:15], off
	v_mov_b32_e32 v12, s20
	v_mov_b32_e32 v13, s21
	buffer_wbl2
	s_waitcnt vmcnt(0)
	global_atomic_cmpswap_x2 v[12:13], v3, v[12:15], s[18:19] offset:32 glc
	s_waitcnt vmcnt(0)
	v_cmp_eq_u64_e32 vcc, v[12:13], v[14:15]
	s_or_b64 s[24:25], vcc, s[24:25]
	v_pk_mov_b32 v[14:15], v[12:13], v[12:13] op_sel:[0,1]
	s_andn2_b64 exec, exec, s[24:25]
	s_cbranch_execnz .LBB1_180
.LBB1_181:                              ;   in Loop: Header=BB1_3 Depth=1
	s_or_b64 exec, exec, s[22:23]
	global_load_dwordx2 v[12:13], v3, s[18:19] offset:16
	s_mov_b64 s[24:25], exec
	v_mbcnt_lo_u32_b32 v2, s24, 0
	v_mbcnt_hi_u32_b32 v2, s25, v2
	v_cmp_eq_u32_e32 vcc, 0, v2
	s_and_saveexec_b64 s[22:23], vcc
	s_cbranch_execz .LBB1_183
; %bb.182:                              ;   in Loop: Header=BB1_3 Depth=1
	s_bcnt1_i32_b64 s5, s[24:25]
	v_mov_b32_e32 v2, s5
	buffer_wbl2
	s_waitcnt vmcnt(0)
	global_atomic_add_x2 v[12:13], v[2:3], off offset:8
.LBB1_183:                              ;   in Loop: Header=BB1_3 Depth=1
	s_or_b64 exec, exec, s[22:23]
	s_waitcnt vmcnt(0)
	global_load_dwordx2 v[14:15], v[12:13], off offset:16
	s_waitcnt vmcnt(0)
	v_cmp_eq_u64_e32 vcc, 0, v[14:15]
	s_cbranch_vccnz .LBB1_185
; %bb.184:                              ;   in Loop: Header=BB1_3 Depth=1
	global_load_dword v2, v[12:13], off offset:24
	buffer_wbl2
	s_waitcnt vmcnt(0)
	global_store_dwordx2 v[14:15], v[2:3], off
	v_and_b32_e32 v2, 0xffffff, v2
	v_readfirstlane_b32 m0, v2
	s_sendmsg sendmsg(MSG_INTERRUPT)
.LBB1_185:                              ;   in Loop: Header=BB1_3 Depth=1
	s_or_b64 exec, exec, s[6:7]
	v_add_co_u32_e32 v4, vcc, v4, v42
	v_addc_co_u32_e32 v5, vcc, 0, v1, vcc
	s_branch .LBB1_189
.LBB1_186:                              ;   in Loop: Header=BB1_189 Depth=2
	s_or_b64 exec, exec, s[6:7]
	v_readfirstlane_b32 s5, v1
	s_cmp_eq_u32 s5, 0
	s_cbranch_scc1 .LBB1_188
; %bb.187:                              ;   in Loop: Header=BB1_189 Depth=2
	s_sleep 1
	s_cbranch_execnz .LBB1_189
	s_branch .LBB1_191
.LBB1_188:                              ;   in Loop: Header=BB1_3 Depth=1
	s_branch .LBB1_191
.LBB1_189:                              ;   Parent Loop BB1_3 Depth=1
                                        ; =>  This Inner Loop Header: Depth=2
	v_mov_b32_e32 v1, 1
	s_and_saveexec_b64 s[6:7], s[0:1]
	s_cbranch_execz .LBB1_186
; %bb.190:                              ;   in Loop: Header=BB1_189 Depth=2
	global_load_dword v1, v[8:9], off offset:20 glc
	s_waitcnt vmcnt(0)
	buffer_invl2
	buffer_wbinvl1_vol
	v_and_b32_e32 v1, 1, v1
	s_branch .LBB1_186
.LBB1_191:                              ;   in Loop: Header=BB1_3 Depth=1
	global_load_dwordx2 v[8:9], v[4:5], off
	s_and_saveexec_b64 s[6:7], s[0:1]
	s_cbranch_execz .LBB1_195
; %bb.192:                              ;   in Loop: Header=BB1_3 Depth=1
	global_load_dwordx2 v[4:5], v3, s[18:19] offset:40
	global_load_dwordx2 v[16:17], v3, s[18:19] offset:24 glc
	global_load_dwordx2 v[18:19], v3, s[18:19]
	v_mov_b32_e32 v1, s21
	s_waitcnt vmcnt(2)
	v_add_co_u32_e32 v2, vcc, 1, v4
	v_addc_co_u32_e32 v11, vcc, 0, v5, vcc
	v_add_co_u32_e32 v12, vcc, s20, v2
	v_addc_co_u32_e32 v13, vcc, v11, v1, vcc
	v_cmp_eq_u64_e32 vcc, 0, v[12:13]
	v_cndmask_b32_e32 v13, v13, v11, vcc
	v_cndmask_b32_e32 v12, v12, v2, vcc
	v_and_b32_e32 v1, v13, v5
	v_and_b32_e32 v2, v12, v4
	v_mul_lo_u32 v1, v1, 24
	v_mul_hi_u32 v4, v2, 24
	v_mul_lo_u32 v2, v2, 24
	v_add_u32_e32 v1, v4, v1
	s_waitcnt vmcnt(0)
	v_add_co_u32_e32 v4, vcc, v18, v2
	v_addc_co_u32_e32 v5, vcc, v19, v1, vcc
	v_mov_b32_e32 v14, v16
	global_store_dwordx2 v[4:5], v[16:17], off
	v_mov_b32_e32 v15, v17
	buffer_wbl2
	s_waitcnt vmcnt(0)
	global_atomic_cmpswap_x2 v[14:15], v3, v[12:15], s[18:19] offset:24 glc
	s_waitcnt vmcnt(0)
	v_cmp_ne_u64_e32 vcc, v[14:15], v[16:17]
	s_and_b64 exec, exec, vcc
	s_cbranch_execz .LBB1_195
; %bb.193:                              ;   in Loop: Header=BB1_3 Depth=1
	s_mov_b64 s[0:1], 0
.LBB1_194:                              ;   Parent Loop BB1_3 Depth=1
                                        ; =>  This Inner Loop Header: Depth=2
	s_sleep 1
	global_store_dwordx2 v[4:5], v[14:15], off
	buffer_wbl2
	s_waitcnt vmcnt(0)
	global_atomic_cmpswap_x2 v[16:17], v3, v[12:15], s[18:19] offset:24 glc
	s_waitcnt vmcnt(0)
	v_cmp_eq_u64_e32 vcc, v[16:17], v[14:15]
	s_or_b64 s[0:1], vcc, s[0:1]
	v_pk_mov_b32 v[14:15], v[16:17], v[16:17] op_sel:[0,1]
	s_andn2_b64 exec, exec, s[0:1]
	s_cbranch_execnz .LBB1_194
.LBB1_195:                              ;   in Loop: Header=BB1_3 Depth=1
	s_or_b64 exec, exec, s[6:7]
	v_readfirstlane_b32 s0, v41
	v_cmp_eq_u32_e64 s[0:1], s0, v41
	v_pk_mov_b32 v[4:5], 0, 0
	s_and_saveexec_b64 s[6:7], s[0:1]
	s_cbranch_execz .LBB1_201
; %bb.196:                              ;   in Loop: Header=BB1_3 Depth=1
	global_load_dwordx2 v[14:15], v3, s[18:19] offset:24 glc
	s_waitcnt vmcnt(0)
	buffer_invl2
	buffer_wbinvl1_vol
	global_load_dwordx2 v[4:5], v3, s[18:19] offset:40
	global_load_dwordx2 v[12:13], v3, s[18:19]
	s_waitcnt vmcnt(1)
	v_and_b32_e32 v1, v4, v14
	v_and_b32_e32 v2, v5, v15
	v_mul_lo_u32 v2, v2, 24
	v_mul_hi_u32 v4, v1, 24
	v_mul_lo_u32 v1, v1, 24
	v_add_u32_e32 v2, v4, v2
	s_waitcnt vmcnt(0)
	v_add_co_u32_e32 v4, vcc, v12, v1
	v_addc_co_u32_e32 v5, vcc, v13, v2, vcc
	global_load_dwordx2 v[12:13], v[4:5], off glc
	s_waitcnt vmcnt(0)
	global_atomic_cmpswap_x2 v[4:5], v3, v[12:15], s[18:19] offset:24 glc
	s_waitcnt vmcnt(0)
	buffer_invl2
	buffer_wbinvl1_vol
	v_cmp_ne_u64_e32 vcc, v[4:5], v[14:15]
	s_and_saveexec_b64 s[20:21], vcc
	s_cbranch_execz .LBB1_200
; %bb.197:                              ;   in Loop: Header=BB1_3 Depth=1
	s_mov_b64 s[22:23], 0
.LBB1_198:                              ;   Parent Loop BB1_3 Depth=1
                                        ; =>  This Inner Loop Header: Depth=2
	s_sleep 1
	global_load_dwordx2 v[12:13], v3, s[18:19] offset:40
	global_load_dwordx2 v[16:17], v3, s[18:19]
	v_pk_mov_b32 v[14:15], v[4:5], v[4:5] op_sel:[0,1]
	s_waitcnt vmcnt(1)
	v_and_b32_e32 v2, v12, v14
	s_waitcnt vmcnt(0)
	v_mad_u64_u32 v[4:5], s[24:25], v2, 24, v[16:17]
	v_and_b32_e32 v1, v13, v15
	v_mov_b32_e32 v2, v5
	v_mad_u64_u32 v[12:13], s[24:25], v1, 24, v[2:3]
	v_mov_b32_e32 v5, v12
	global_load_dwordx2 v[12:13], v[4:5], off glc
	s_waitcnt vmcnt(0)
	global_atomic_cmpswap_x2 v[4:5], v3, v[12:15], s[18:19] offset:24 glc
	s_waitcnt vmcnt(0)
	buffer_invl2
	buffer_wbinvl1_vol
	v_cmp_eq_u64_e32 vcc, v[4:5], v[14:15]
	s_or_b64 s[22:23], vcc, s[22:23]
	s_andn2_b64 exec, exec, s[22:23]
	s_cbranch_execnz .LBB1_198
; %bb.199:                              ;   in Loop: Header=BB1_3 Depth=1
	s_or_b64 exec, exec, s[22:23]
.LBB1_200:                              ;   in Loop: Header=BB1_3 Depth=1
	s_or_b64 exec, exec, s[20:21]
.LBB1_201:                              ;   in Loop: Header=BB1_3 Depth=1
	s_or_b64 exec, exec, s[6:7]
	global_load_dwordx2 v[16:17], v3, s[18:19] offset:40
	global_load_dwordx4 v[12:15], v3, s[18:19]
	v_readfirstlane_b32 s20, v4
	v_readfirstlane_b32 s21, v5
	s_mov_b64 s[6:7], exec
	s_waitcnt vmcnt(1)
	v_readfirstlane_b32 s22, v16
	v_readfirstlane_b32 s23, v17
	s_and_b64 s[22:23], s[20:21], s[22:23]
	s_mul_i32 s5, s23, 24
	s_mul_hi_u32 s24, s22, 24
	s_mul_i32 s25, s22, 24
	s_add_i32 s5, s24, s5
	v_mov_b32_e32 v1, s5
	s_waitcnt vmcnt(0)
	v_add_co_u32_e32 v16, vcc, s25, v12
	v_addc_co_u32_e32 v17, vcc, v13, v1, vcc
	s_and_saveexec_b64 s[24:25], s[0:1]
	s_cbranch_execz .LBB1_203
; %bb.202:                              ;   in Loop: Header=BB1_3 Depth=1
	v_pk_mov_b32 v[4:5], s[6:7], s[6:7] op_sel:[0,1]
	global_store_dwordx4 v[16:17], v[4:7], off offset:8
.LBB1_203:                              ;   in Loop: Header=BB1_3 Depth=1
	s_or_b64 exec, exec, s[24:25]
	s_lshl_b64 s[6:7], s[22:23], 12
	v_mov_b32_e32 v1, s7
	v_add_co_u32_e32 v2, vcc, s6, v14
	v_addc_co_u32_e32 v1, vcc, v15, v1, vcc
	v_and_or_b32 v8, v8, s34, 34
	v_mov_b32_e32 v11, v3
	v_readfirstlane_b32 s22, v2
	v_readfirstlane_b32 s23, v1
	s_mov_b32 s6, s4
	s_mov_b32 s7, s4
	;; [unrolled: 1-line block ×3, first 2 shown]
	s_nop 1
	global_store_dwordx4 v42, v[8:11], s[22:23]
	s_nop 0
	v_pk_mov_b32 v[10:11], s[6:7], s[6:7] op_sel:[0,1]
	v_pk_mov_b32 v[8:9], s[4:5], s[4:5] op_sel:[0,1]
	global_store_dwordx4 v42, v[8:11], s[22:23] offset:16
	global_store_dwordx4 v42, v[8:11], s[22:23] offset:32
	;; [unrolled: 1-line block ×3, first 2 shown]
	s_and_saveexec_b64 s[6:7], s[0:1]
	s_cbranch_execz .LBB1_211
; %bb.204:                              ;   in Loop: Header=BB1_3 Depth=1
	global_load_dwordx2 v[20:21], v3, s[18:19] offset:32 glc
	global_load_dwordx2 v[4:5], v3, s[18:19] offset:40
	v_mov_b32_e32 v18, s20
	v_mov_b32_e32 v19, s21
	s_waitcnt vmcnt(0)
	v_readfirstlane_b32 s22, v4
	v_readfirstlane_b32 s23, v5
	s_and_b64 s[22:23], s[22:23], s[20:21]
	s_mul_i32 s5, s23, 24
	s_mul_hi_u32 s23, s22, 24
	s_mul_i32 s22, s22, 24
	s_add_i32 s5, s23, s5
	v_mov_b32_e32 v1, s5
	v_add_co_u32_e32 v4, vcc, s22, v12
	v_addc_co_u32_e32 v5, vcc, v13, v1, vcc
	global_store_dwordx2 v[4:5], v[20:21], off
	buffer_wbl2
	s_waitcnt vmcnt(0)
	global_atomic_cmpswap_x2 v[10:11], v3, v[18:21], s[18:19] offset:32 glc
	s_waitcnt vmcnt(0)
	v_cmp_ne_u64_e32 vcc, v[10:11], v[20:21]
	s_and_saveexec_b64 s[22:23], vcc
	s_cbranch_execz .LBB1_207
; %bb.205:                              ;   in Loop: Header=BB1_3 Depth=1
	s_mov_b64 s[24:25], 0
.LBB1_206:                              ;   Parent Loop BB1_3 Depth=1
                                        ; =>  This Inner Loop Header: Depth=2
	s_sleep 1
	global_store_dwordx2 v[4:5], v[10:11], off
	v_mov_b32_e32 v8, s20
	v_mov_b32_e32 v9, s21
	buffer_wbl2
	s_waitcnt vmcnt(0)
	global_atomic_cmpswap_x2 v[8:9], v3, v[8:11], s[18:19] offset:32 glc
	s_waitcnt vmcnt(0)
	v_cmp_eq_u64_e32 vcc, v[8:9], v[10:11]
	s_or_b64 s[24:25], vcc, s[24:25]
	v_pk_mov_b32 v[10:11], v[8:9], v[8:9] op_sel:[0,1]
	s_andn2_b64 exec, exec, s[24:25]
	s_cbranch_execnz .LBB1_206
.LBB1_207:                              ;   in Loop: Header=BB1_3 Depth=1
	s_or_b64 exec, exec, s[22:23]
	global_load_dwordx2 v[4:5], v3, s[18:19] offset:16
	s_mov_b64 s[24:25], exec
	v_mbcnt_lo_u32_b32 v1, s24, 0
	v_mbcnt_hi_u32_b32 v1, s25, v1
	v_cmp_eq_u32_e32 vcc, 0, v1
	s_and_saveexec_b64 s[22:23], vcc
	s_cbranch_execz .LBB1_209
; %bb.208:                              ;   in Loop: Header=BB1_3 Depth=1
	s_bcnt1_i32_b64 s5, s[24:25]
	v_mov_b32_e32 v2, s5
	buffer_wbl2
	s_waitcnt vmcnt(0)
	global_atomic_add_x2 v[4:5], v[2:3], off offset:8
.LBB1_209:                              ;   in Loop: Header=BB1_3 Depth=1
	s_or_b64 exec, exec, s[22:23]
	s_waitcnt vmcnt(0)
	global_load_dwordx2 v[8:9], v[4:5], off offset:16
	s_waitcnt vmcnt(0)
	v_cmp_eq_u64_e32 vcc, 0, v[8:9]
	s_cbranch_vccnz .LBB1_211
; %bb.210:                              ;   in Loop: Header=BB1_3 Depth=1
	global_load_dword v2, v[4:5], off offset:24
	s_waitcnt vmcnt(0)
	v_and_b32_e32 v1, 0xffffff, v2
	v_readfirstlane_b32 m0, v1
	buffer_wbl2
	global_store_dwordx2 v[8:9], v[2:3], off
	s_sendmsg sendmsg(MSG_INTERRUPT)
.LBB1_211:                              ;   in Loop: Header=BB1_3 Depth=1
	s_or_b64 exec, exec, s[6:7]
	s_branch .LBB1_215
.LBB1_212:                              ;   in Loop: Header=BB1_215 Depth=2
	s_or_b64 exec, exec, s[6:7]
	v_readfirstlane_b32 s5, v1
	s_cmp_eq_u32 s5, 0
	s_cbranch_scc1 .LBB1_214
; %bb.213:                              ;   in Loop: Header=BB1_215 Depth=2
	s_sleep 1
	s_cbranch_execnz .LBB1_215
	s_branch .LBB1_217
.LBB1_214:                              ;   in Loop: Header=BB1_3 Depth=1
	s_branch .LBB1_217
.LBB1_215:                              ;   Parent Loop BB1_3 Depth=1
                                        ; =>  This Inner Loop Header: Depth=2
	v_mov_b32_e32 v1, 1
	s_and_saveexec_b64 s[6:7], s[0:1]
	s_cbranch_execz .LBB1_212
; %bb.216:                              ;   in Loop: Header=BB1_215 Depth=2
	global_load_dword v1, v[16:17], off offset:20 glc
	s_waitcnt vmcnt(0)
	buffer_invl2
	buffer_wbinvl1_vol
	v_and_b32_e32 v1, 1, v1
	s_branch .LBB1_212
.LBB1_217:                              ;   in Loop: Header=BB1_3 Depth=1
	s_and_b64 exec, exec, s[0:1]
	s_cbranch_execz .LBB1_2
; %bb.218:                              ;   in Loop: Header=BB1_3 Depth=1
	global_load_dwordx2 v[4:5], v3, s[18:19] offset:40
	global_load_dwordx2 v[12:13], v3, s[18:19] offset:24 glc
	global_load_dwordx2 v[14:15], v3, s[18:19]
	v_mov_b32_e32 v1, s21
	s_waitcnt vmcnt(2)
	v_add_co_u32_e32 v2, vcc, 1, v4
	v_addc_co_u32_e32 v11, vcc, 0, v5, vcc
	v_add_co_u32_e32 v8, vcc, s20, v2
	v_addc_co_u32_e32 v9, vcc, v11, v1, vcc
	v_cmp_eq_u64_e32 vcc, 0, v[8:9]
	v_cndmask_b32_e32 v9, v9, v11, vcc
	v_cndmask_b32_e32 v8, v8, v2, vcc
	v_and_b32_e32 v1, v9, v5
	v_and_b32_e32 v2, v8, v4
	v_mul_lo_u32 v1, v1, 24
	v_mul_hi_u32 v4, v2, 24
	v_mul_lo_u32 v2, v2, 24
	v_add_u32_e32 v1, v4, v1
	s_waitcnt vmcnt(0)
	v_add_co_u32_e32 v4, vcc, v14, v2
	v_addc_co_u32_e32 v5, vcc, v15, v1, vcc
	v_mov_b32_e32 v10, v12
	global_store_dwordx2 v[4:5], v[12:13], off
	v_mov_b32_e32 v11, v13
	buffer_wbl2
	s_waitcnt vmcnt(0)
	global_atomic_cmpswap_x2 v[10:11], v3, v[8:11], s[18:19] offset:24 glc
	s_waitcnt vmcnt(0)
	v_cmp_ne_u64_e32 vcc, v[10:11], v[12:13]
	s_and_b64 exec, exec, vcc
	s_cbranch_execz .LBB1_2
; %bb.219:                              ;   in Loop: Header=BB1_3 Depth=1
	s_mov_b64 s[0:1], 0
.LBB1_220:                              ;   Parent Loop BB1_3 Depth=1
                                        ; =>  This Inner Loop Header: Depth=2
	s_sleep 1
	global_store_dwordx2 v[4:5], v[10:11], off
	buffer_wbl2
	s_waitcnt vmcnt(0)
	global_atomic_cmpswap_x2 v[12:13], v3, v[8:11], s[18:19] offset:24 glc
	s_waitcnt vmcnt(0)
	v_cmp_eq_u64_e32 vcc, v[12:13], v[10:11]
	s_or_b64 s[0:1], vcc, s[0:1]
	v_pk_mov_b32 v[10:11], v[12:13], v[12:13] op_sel:[0,1]
	s_andn2_b64 exec, exec, s[0:1]
	s_cbranch_execnz .LBB1_220
	s_branch .LBB1_2
.LBB1_221:
	s_endpgm
	.section	.rodata,"a",@progbits
	.p2align	6, 0x0
	.amdhsa_kernel _Z10vec_verifyIiEvPT_S0_i
		.amdhsa_group_segment_fixed_size 0
		.amdhsa_private_segment_fixed_size 0
		.amdhsa_kernarg_size 272
		.amdhsa_user_sgpr_count 6
		.amdhsa_user_sgpr_private_segment_buffer 1
		.amdhsa_user_sgpr_dispatch_ptr 0
		.amdhsa_user_sgpr_queue_ptr 0
		.amdhsa_user_sgpr_kernarg_segment_ptr 1
		.amdhsa_user_sgpr_dispatch_id 0
		.amdhsa_user_sgpr_flat_scratch_init 0
		.amdhsa_user_sgpr_kernarg_preload_length 0
		.amdhsa_user_sgpr_kernarg_preload_offset 0
		.amdhsa_user_sgpr_private_segment_size 0
		.amdhsa_uses_dynamic_stack 0
		.amdhsa_system_sgpr_private_segment_wavefront_offset 0
		.amdhsa_system_sgpr_workgroup_id_x 1
		.amdhsa_system_sgpr_workgroup_id_y 0
		.amdhsa_system_sgpr_workgroup_id_z 0
		.amdhsa_system_sgpr_workgroup_info 0
		.amdhsa_system_vgpr_workitem_id 0
		.amdhsa_next_free_vgpr 43
		.amdhsa_next_free_sgpr 35
		.amdhsa_accum_offset 44
		.amdhsa_reserve_vcc 1
		.amdhsa_reserve_flat_scratch 0
		.amdhsa_float_round_mode_32 0
		.amdhsa_float_round_mode_16_64 0
		.amdhsa_float_denorm_mode_32 3
		.amdhsa_float_denorm_mode_16_64 3
		.amdhsa_dx10_clamp 1
		.amdhsa_ieee_mode 1
		.amdhsa_fp16_overflow 0
		.amdhsa_tg_split 0
		.amdhsa_exception_fp_ieee_invalid_op 0
		.amdhsa_exception_fp_denorm_src 0
		.amdhsa_exception_fp_ieee_div_zero 0
		.amdhsa_exception_fp_ieee_overflow 0
		.amdhsa_exception_fp_ieee_underflow 0
		.amdhsa_exception_fp_ieee_inexact 0
		.amdhsa_exception_int_div_zero 0
	.end_amdhsa_kernel
	.section	.text._Z10vec_verifyIiEvPT_S0_i,"axG",@progbits,_Z10vec_verifyIiEvPT_S0_i,comdat
.Lfunc_end1:
	.size	_Z10vec_verifyIiEvPT_S0_i, .Lfunc_end1-_Z10vec_verifyIiEvPT_S0_i
                                        ; -- End function
	.section	.AMDGPU.csdata,"",@progbits
; Kernel info:
; codeLenInByte = 8576
; NumSgprs: 39
; NumVgprs: 43
; NumAgprs: 0
; TotalNumVgprs: 43
; ScratchSize: 0
; MemoryBound: 0
; FloatMode: 240
; IeeeMode: 1
; LDSByteSize: 0 bytes/workgroup (compile time only)
; SGPRBlocks: 4
; VGPRBlocks: 5
; NumSGPRsForWavesPerEU: 39
; NumVGPRsForWavesPerEU: 43
; AccumOffset: 44
; Occupancy: 8
; WaveLimiterHint : 1
; COMPUTE_PGM_RSRC2:SCRATCH_EN: 0
; COMPUTE_PGM_RSRC2:USER_SGPR: 6
; COMPUTE_PGM_RSRC2:TRAP_HANDLER: 0
; COMPUTE_PGM_RSRC2:TGID_X_EN: 1
; COMPUTE_PGM_RSRC2:TGID_Y_EN: 0
; COMPUTE_PGM_RSRC2:TGID_Z_EN: 0
; COMPUTE_PGM_RSRC2:TIDIG_COMP_CNT: 0
; COMPUTE_PGM_RSRC3_GFX90A:ACCUM_OFFSET: 10
; COMPUTE_PGM_RSRC3_GFX90A:TG_SPLIT: 0
	.section	.text._Z8vec_fillIdEvPT_S0_i,"axG",@progbits,_Z8vec_fillIdEvPT_S0_i,comdat
	.protected	_Z8vec_fillIdEvPT_S0_i  ; -- Begin function _Z8vec_fillIdEvPT_S0_i
	.globl	_Z8vec_fillIdEvPT_S0_i
	.p2align	8
	.type	_Z8vec_fillIdEvPT_S0_i,@function
_Z8vec_fillIdEvPT_S0_i:                 ; @_Z8vec_fillIdEvPT_S0_i
; %bb.0:
	s_load_dword s0, s[4:5], 0x24
	s_load_dword s10, s[4:5], 0x10
	s_add_u32 s8, s4, 24
	s_addc_u32 s9, s5, 0
	s_waitcnt lgkmcnt(0)
	s_and_b32 s7, s0, 0xffff
	s_mul_i32 s6, s6, s7
	v_add_u32_e32 v0, s6, v0
	v_cmp_gt_i32_e32 vcc, s10, v0
	s_and_saveexec_b64 s[0:1], vcc
	s_cbranch_execz .LBB2_3
; %bb.1:
	s_load_dword s6, s[8:9], 0x0
	s_load_dwordx4 s[0:3], s[4:5], 0x0
	v_ashrrev_i32_e32 v1, 31, v0
	v_lshlrev_b64 v[2:3], 3, v[0:1]
	s_waitcnt lgkmcnt(0)
	s_mul_i32 s4, s6, s7
	s_ashr_i32 s5, s4, 31
	v_mov_b32_e32 v1, s1
	v_add_co_u32_e32 v2, vcc, s0, v2
	s_lshl_b64 s[0:1], s[4:5], 3
	v_addc_co_u32_e32 v3, vcc, v1, v3, vcc
	s_mov_b64 s[6:7], 0
	v_mov_b32_e32 v1, s1
.LBB2_2:                                ; =>This Inner Loop Header: Depth=1
	v_cvt_f64_i32_e32 v[4:5], v0
	v_add_u32_e32 v0, s4, v0
	v_mul_f64 v[4:5], v[4:5], s[2:3]
	v_cmp_le_i32_e32 vcc, s10, v0
	global_store_dwordx2 v[2:3], v[4:5], off
	s_or_b64 s[6:7], vcc, s[6:7]
	v_add_co_u32_e32 v2, vcc, s0, v2
	v_addc_co_u32_e32 v3, vcc, v3, v1, vcc
	s_andn2_b64 exec, exec, s[6:7]
	s_cbranch_execnz .LBB2_2
.LBB2_3:
	s_endpgm
	.section	.rodata,"a",@progbits
	.p2align	6, 0x0
	.amdhsa_kernel _Z8vec_fillIdEvPT_S0_i
		.amdhsa_group_segment_fixed_size 0
		.amdhsa_private_segment_fixed_size 0
		.amdhsa_kernarg_size 280
		.amdhsa_user_sgpr_count 6
		.amdhsa_user_sgpr_private_segment_buffer 1
		.amdhsa_user_sgpr_dispatch_ptr 0
		.amdhsa_user_sgpr_queue_ptr 0
		.amdhsa_user_sgpr_kernarg_segment_ptr 1
		.amdhsa_user_sgpr_dispatch_id 0
		.amdhsa_user_sgpr_flat_scratch_init 0
		.amdhsa_user_sgpr_kernarg_preload_length 0
		.amdhsa_user_sgpr_kernarg_preload_offset 0
		.amdhsa_user_sgpr_private_segment_size 0
		.amdhsa_uses_dynamic_stack 0
		.amdhsa_system_sgpr_private_segment_wavefront_offset 0
		.amdhsa_system_sgpr_workgroup_id_x 1
		.amdhsa_system_sgpr_workgroup_id_y 0
		.amdhsa_system_sgpr_workgroup_id_z 0
		.amdhsa_system_sgpr_workgroup_info 0
		.amdhsa_system_vgpr_workitem_id 0
		.amdhsa_next_free_vgpr 6
		.amdhsa_next_free_sgpr 11
		.amdhsa_accum_offset 8
		.amdhsa_reserve_vcc 1
		.amdhsa_reserve_flat_scratch 0
		.amdhsa_float_round_mode_32 0
		.amdhsa_float_round_mode_16_64 0
		.amdhsa_float_denorm_mode_32 3
		.amdhsa_float_denorm_mode_16_64 3
		.amdhsa_dx10_clamp 1
		.amdhsa_ieee_mode 1
		.amdhsa_fp16_overflow 0
		.amdhsa_tg_split 0
		.amdhsa_exception_fp_ieee_invalid_op 0
		.amdhsa_exception_fp_denorm_src 0
		.amdhsa_exception_fp_ieee_div_zero 0
		.amdhsa_exception_fp_ieee_overflow 0
		.amdhsa_exception_fp_ieee_underflow 0
		.amdhsa_exception_fp_ieee_inexact 0
		.amdhsa_exception_int_div_zero 0
	.end_amdhsa_kernel
	.section	.text._Z8vec_fillIdEvPT_S0_i,"axG",@progbits,_Z8vec_fillIdEvPT_S0_i,comdat
.Lfunc_end2:
	.size	_Z8vec_fillIdEvPT_S0_i, .Lfunc_end2-_Z8vec_fillIdEvPT_S0_i
                                        ; -- End function
	.section	.AMDGPU.csdata,"",@progbits
; Kernel info:
; codeLenInByte = 172
; NumSgprs: 15
; NumVgprs: 6
; NumAgprs: 0
; TotalNumVgprs: 6
; ScratchSize: 0
; MemoryBound: 0
; FloatMode: 240
; IeeeMode: 1
; LDSByteSize: 0 bytes/workgroup (compile time only)
; SGPRBlocks: 1
; VGPRBlocks: 0
; NumSGPRsForWavesPerEU: 15
; NumVGPRsForWavesPerEU: 6
; AccumOffset: 8
; Occupancy: 8
; WaveLimiterHint : 0
; COMPUTE_PGM_RSRC2:SCRATCH_EN: 0
; COMPUTE_PGM_RSRC2:USER_SGPR: 6
; COMPUTE_PGM_RSRC2:TRAP_HANDLER: 0
; COMPUTE_PGM_RSRC2:TGID_X_EN: 1
; COMPUTE_PGM_RSRC2:TGID_Y_EN: 0
; COMPUTE_PGM_RSRC2:TGID_Z_EN: 0
; COMPUTE_PGM_RSRC2:TIDIG_COMP_CNT: 0
; COMPUTE_PGM_RSRC3_GFX90A:ACCUM_OFFSET: 1
; COMPUTE_PGM_RSRC3_GFX90A:TG_SPLIT: 0
	.section	.text._Z10vec_verifyIdEvPT_S0_i,"axG",@progbits,_Z10vec_verifyIdEvPT_S0_i,comdat
	.protected	_Z10vec_verifyIdEvPT_S0_i ; -- Begin function _Z10vec_verifyIdEvPT_S0_i
	.globl	_Z10vec_verifyIdEvPT_S0_i
	.p2align	8
	.type	_Z10vec_verifyIdEvPT_S0_i,@function
_Z10vec_verifyIdEvPT_S0_i:              ; @_Z10vec_verifyIdEvPT_S0_i
; %bb.0:
	s_load_dword s0, s[4:5], 0x24
	s_load_dword s33, s[4:5], 0x10
	s_add_u32 s2, s4, 24
	s_addc_u32 s3, s5, 0
	s_waitcnt lgkmcnt(0)
	s_and_b32 s0, s0, 0xffff
	s_mul_i32 s6, s6, s0
	v_add_u32_e32 v38, s6, v0
	v_cmp_gt_i32_e32 vcc, s33, v38
	s_and_saveexec_b64 s[6:7], vcc
	s_cbranch_execz .LBB3_221
; %bb.1:
	s_load_dword s34, s[2:3], 0x0
	s_load_dwordx4 s[8:11], s[4:5], 0x0
	s_getpc_b64 s[4:5]
	s_add_u32 s4, s4, .str@rel32@lo+4
	s_addc_u32 s5, s5, .str@rel32@hi+12
	v_mbcnt_lo_u32_b32 v0, -1, 0
	s_cmp_lg_u64 s[4:5], 0
	v_mbcnt_hi_u32_b32 v41, -1, v0
	s_mov_b64 s[12:13], 0
	s_waitcnt lgkmcnt(0)
	s_mul_i32 s34, s34, s0
	s_cselect_b64 s[14:15], -1, 0
	v_mov_b32_e32 v40, s9
	s_mov_b32 s4, 0
	v_mov_b32_e32 v3, 0
	s_movk_i32 s9, 0xff1f
	s_movk_i32 s35, 0xff1d
	v_mov_b32_e32 v6, 2
	v_mov_b32_e32 v7, 1
	v_lshlrev_b32_e32 v42, 6, v41
	v_mov_b32_e32 v0, 33
	s_branch .LBB3_3
.LBB3_2:                                ;   in Loop: Header=BB3_3 Depth=1
	s_or_b64 exec, exec, s[16:17]
	v_add_u32_e32 v38, s34, v38
	v_cmp_le_i32_e32 vcc, s33, v38
	s_or_b64 s[12:13], vcc, s[12:13]
	s_andn2_b64 exec, exec, s[12:13]
	s_cbranch_execz .LBB3_221
.LBB3_3:                                ; =>This Loop Header: Depth=1
                                        ;     Child Loop BB3_7 Depth 2
                                        ;     Child Loop BB3_15 Depth 2
	;; [unrolled: 1-line block ×9, first 2 shown]
                                        ;       Child Loop BB3_36 Depth 3
                                        ;       Child Loop BB3_43 Depth 3
	;; [unrolled: 1-line block ×11, first 2 shown]
                                        ;     Child Loop BB3_146 Depth 2
                                        ;     Child Loop BB3_154 Depth 2
	;; [unrolled: 1-line block ×12, first 2 shown]
	v_ashrrev_i32_e32 v39, 31, v38
	v_lshlrev_b64 v[4:5], 3, v[38:39]
	v_add_co_u32_e32 v4, vcc, s8, v4
	v_addc_co_u32_e32 v5, vcc, v40, v5, vcc
	global_load_dwordx2 v[14:15], v[4:5], off
	v_cvt_f64_i32_e32 v[4:5], v38
	v_mul_f64 v[10:11], v[4:5], s[10:11]
	s_waitcnt vmcnt(0)
	v_cmp_neq_f64_e32 vcc, v[14:15], v[10:11]
	s_and_saveexec_b64 s[16:17], vcc
	s_cbranch_execz .LBB3_2
; %bb.4:                                ;   in Loop: Header=BB3_3 Depth=1
	s_load_dwordx2 s[18:19], s[2:3], 0x50
	v_readfirstlane_b32 s0, v41
	v_cmp_eq_u32_e64 s[0:1], s0, v41
	v_pk_mov_b32 v[4:5], 0, 0
	s_and_saveexec_b64 s[6:7], s[0:1]
	s_cbranch_execz .LBB3_10
; %bb.5:                                ;   in Loop: Header=BB3_3 Depth=1
	s_waitcnt lgkmcnt(0)
	global_load_dwordx2 v[18:19], v3, s[18:19] offset:24 glc
	s_waitcnt vmcnt(0)
	buffer_invl2
	buffer_wbinvl1_vol
	global_load_dwordx2 v[4:5], v3, s[18:19] offset:40
	global_load_dwordx2 v[8:9], v3, s[18:19]
	s_waitcnt vmcnt(1)
	v_and_b32_e32 v1, v4, v18
	v_and_b32_e32 v2, v5, v19
	v_mul_lo_u32 v2, v2, 24
	v_mul_hi_u32 v4, v1, 24
	v_mul_lo_u32 v1, v1, 24
	v_add_u32_e32 v2, v4, v2
	s_waitcnt vmcnt(0)
	v_add_co_u32_e32 v4, vcc, v8, v1
	v_addc_co_u32_e32 v5, vcc, v9, v2, vcc
	global_load_dwordx2 v[16:17], v[4:5], off glc
	s_waitcnt vmcnt(0)
	global_atomic_cmpswap_x2 v[4:5], v3, v[16:19], s[18:19] offset:24 glc
	s_waitcnt vmcnt(0)
	buffer_invl2
	buffer_wbinvl1_vol
	v_cmp_ne_u64_e32 vcc, v[4:5], v[18:19]
	s_and_saveexec_b64 s[20:21], vcc
	s_cbranch_execz .LBB3_9
; %bb.6:                                ;   in Loop: Header=BB3_3 Depth=1
	s_mov_b64 s[22:23], 0
.LBB3_7:                                ;   Parent Loop BB3_3 Depth=1
                                        ; =>  This Inner Loop Header: Depth=2
	s_sleep 1
	global_load_dwordx2 v[8:9], v3, s[18:19] offset:40
	global_load_dwordx2 v[12:13], v3, s[18:19]
	v_pk_mov_b32 v[18:19], v[4:5], v[4:5] op_sel:[0,1]
	s_waitcnt vmcnt(1)
	v_and_b32_e32 v2, v8, v18
	s_waitcnt vmcnt(0)
	v_mad_u64_u32 v[4:5], s[24:25], v2, 24, v[12:13]
	v_and_b32_e32 v1, v9, v19
	v_mov_b32_e32 v2, v5
	v_mad_u64_u32 v[8:9], s[24:25], v1, 24, v[2:3]
	v_mov_b32_e32 v5, v8
	global_load_dwordx2 v[16:17], v[4:5], off glc
	s_waitcnt vmcnt(0)
	global_atomic_cmpswap_x2 v[4:5], v3, v[16:19], s[18:19] offset:24 glc
	s_waitcnt vmcnt(0)
	buffer_invl2
	buffer_wbinvl1_vol
	v_cmp_eq_u64_e32 vcc, v[4:5], v[18:19]
	s_or_b64 s[22:23], vcc, s[22:23]
	s_andn2_b64 exec, exec, s[22:23]
	s_cbranch_execnz .LBB3_7
; %bb.8:                                ;   in Loop: Header=BB3_3 Depth=1
	s_or_b64 exec, exec, s[22:23]
.LBB3_9:                                ;   in Loop: Header=BB3_3 Depth=1
	s_or_b64 exec, exec, s[20:21]
.LBB3_10:                               ;   in Loop: Header=BB3_3 Depth=1
	s_or_b64 exec, exec, s[6:7]
	s_waitcnt lgkmcnt(0)
	global_load_dwordx2 v[8:9], v3, s[18:19] offset:40
	global_load_dwordx4 v[16:19], v3, s[18:19]
	v_readfirstlane_b32 s20, v4
	v_readfirstlane_b32 s21, v5
	s_mov_b64 s[6:7], exec
	s_waitcnt vmcnt(1)
	v_readfirstlane_b32 s22, v8
	v_readfirstlane_b32 s23, v9
	s_and_b64 s[22:23], s[20:21], s[22:23]
	s_mul_i32 s5, s23, 24
	s_mul_hi_u32 s24, s22, 24
	s_mul_i32 s25, s22, 24
	s_add_i32 s5, s24, s5
	v_mov_b32_e32 v1, s5
	s_waitcnt vmcnt(0)
	v_add_co_u32_e32 v8, vcc, s25, v16
	v_addc_co_u32_e32 v9, vcc, v17, v1, vcc
	s_and_saveexec_b64 s[24:25], s[0:1]
	s_cbranch_execz .LBB3_12
; %bb.11:                               ;   in Loop: Header=BB3_3 Depth=1
	v_pk_mov_b32 v[4:5], s[6:7], s[6:7] op_sel:[0,1]
	global_store_dwordx4 v[8:9], v[4:7], off offset:8
.LBB3_12:                               ;   in Loop: Header=BB3_3 Depth=1
	s_or_b64 exec, exec, s[24:25]
	s_lshl_b64 s[6:7], s[22:23], 12
	v_mov_b32_e32 v1, s7
	v_add_co_u32_e32 v4, vcc, s6, v18
	s_mov_b32 s6, s4
	s_mov_b32 s7, s4
	v_addc_co_u32_e32 v5, vcc, v19, v1, vcc
	s_mov_b32 s5, s4
	v_pk_mov_b32 v[20:21], s[6:7], s[6:7] op_sel:[0,1]
	v_mov_b32_e32 v1, v3
	v_mov_b32_e32 v2, v3
	v_readfirstlane_b32 s22, v4
	v_readfirstlane_b32 s23, v5
	v_pk_mov_b32 v[18:19], s[4:5], s[4:5] op_sel:[0,1]
	s_nop 3
	global_store_dwordx4 v42, v[0:3], s[22:23]
	global_store_dwordx4 v42, v[18:21], s[22:23] offset:16
	global_store_dwordx4 v42, v[18:21], s[22:23] offset:32
	;; [unrolled: 1-line block ×3, first 2 shown]
	s_and_saveexec_b64 s[6:7], s[0:1]
	s_cbranch_execz .LBB3_20
; %bb.13:                               ;   in Loop: Header=BB3_3 Depth=1
	global_load_dwordx2 v[20:21], v3, s[18:19] offset:32 glc
	global_load_dwordx2 v[12:13], v3, s[18:19] offset:40
	v_mov_b32_e32 v18, s20
	v_mov_b32_e32 v19, s21
	s_waitcnt vmcnt(0)
	v_and_b32_e32 v1, s20, v12
	v_and_b32_e32 v2, s21, v13
	v_mul_lo_u32 v2, v2, 24
	v_mul_hi_u32 v12, v1, 24
	v_mul_lo_u32 v1, v1, 24
	v_add_u32_e32 v2, v12, v2
	v_add_co_u32_e32 v12, vcc, v16, v1
	v_addc_co_u32_e32 v13, vcc, v17, v2, vcc
	global_store_dwordx2 v[12:13], v[20:21], off
	buffer_wbl2
	s_waitcnt vmcnt(0)
	global_atomic_cmpswap_x2 v[18:19], v3, v[18:21], s[18:19] offset:32 glc
	s_waitcnt vmcnt(0)
	v_cmp_ne_u64_e32 vcc, v[18:19], v[20:21]
	s_and_saveexec_b64 s[22:23], vcc
	s_cbranch_execz .LBB3_16
; %bb.14:                               ;   in Loop: Header=BB3_3 Depth=1
	s_mov_b64 s[24:25], 0
.LBB3_15:                               ;   Parent Loop BB3_3 Depth=1
                                        ; =>  This Inner Loop Header: Depth=2
	s_sleep 1
	global_store_dwordx2 v[12:13], v[18:19], off
	v_mov_b32_e32 v16, s20
	v_mov_b32_e32 v17, s21
	buffer_wbl2
	s_waitcnt vmcnt(0)
	global_atomic_cmpswap_x2 v[16:17], v3, v[16:19], s[18:19] offset:32 glc
	s_waitcnt vmcnt(0)
	v_cmp_eq_u64_e32 vcc, v[16:17], v[18:19]
	s_or_b64 s[24:25], vcc, s[24:25]
	v_pk_mov_b32 v[18:19], v[16:17], v[16:17] op_sel:[0,1]
	s_andn2_b64 exec, exec, s[24:25]
	s_cbranch_execnz .LBB3_15
.LBB3_16:                               ;   in Loop: Header=BB3_3 Depth=1
	s_or_b64 exec, exec, s[22:23]
	global_load_dwordx2 v[12:13], v3, s[18:19] offset:16
	s_mov_b64 s[24:25], exec
	v_mbcnt_lo_u32_b32 v1, s24, 0
	v_mbcnt_hi_u32_b32 v1, s25, v1
	v_cmp_eq_u32_e32 vcc, 0, v1
	s_and_saveexec_b64 s[22:23], vcc
	s_cbranch_execz .LBB3_18
; %bb.17:                               ;   in Loop: Header=BB3_3 Depth=1
	s_bcnt1_i32_b64 s5, s[24:25]
	v_mov_b32_e32 v2, s5
	buffer_wbl2
	s_waitcnt vmcnt(0)
	global_atomic_add_x2 v[12:13], v[2:3], off offset:8
.LBB3_18:                               ;   in Loop: Header=BB3_3 Depth=1
	s_or_b64 exec, exec, s[22:23]
	s_waitcnt vmcnt(0)
	global_load_dwordx2 v[16:17], v[12:13], off offset:16
	s_waitcnt vmcnt(0)
	v_cmp_eq_u64_e32 vcc, 0, v[16:17]
	s_cbranch_vccnz .LBB3_20
; %bb.19:                               ;   in Loop: Header=BB3_3 Depth=1
	global_load_dword v2, v[12:13], off offset:24
	s_waitcnt vmcnt(0)
	v_and_b32_e32 v1, 0xffffff, v2
	v_readfirstlane_b32 m0, v1
	buffer_wbl2
	global_store_dwordx2 v[16:17], v[2:3], off
	s_sendmsg sendmsg(MSG_INTERRUPT)
.LBB3_20:                               ;   in Loop: Header=BB3_3 Depth=1
	s_or_b64 exec, exec, s[6:7]
	v_add_co_u32_e32 v4, vcc, v4, v42
	v_addc_co_u32_e32 v5, vcc, 0, v5, vcc
	s_branch .LBB3_24
.LBB3_21:                               ;   in Loop: Header=BB3_24 Depth=2
	s_or_b64 exec, exec, s[6:7]
	v_readfirstlane_b32 s5, v1
	s_cmp_eq_u32 s5, 0
	s_cbranch_scc1 .LBB3_23
; %bb.22:                               ;   in Loop: Header=BB3_24 Depth=2
	s_sleep 1
	s_cbranch_execnz .LBB3_24
	s_branch .LBB3_26
.LBB3_23:                               ;   in Loop: Header=BB3_3 Depth=1
	s_branch .LBB3_26
.LBB3_24:                               ;   Parent Loop BB3_3 Depth=1
                                        ; =>  This Inner Loop Header: Depth=2
	v_mov_b32_e32 v1, 1
	s_and_saveexec_b64 s[6:7], s[0:1]
	s_cbranch_execz .LBB3_21
; %bb.25:                               ;   in Loop: Header=BB3_24 Depth=2
	global_load_dword v1, v[8:9], off offset:20 glc
	s_waitcnt vmcnt(0)
	buffer_invl2
	buffer_wbinvl1_vol
	v_and_b32_e32 v1, 1, v1
	s_branch .LBB3_21
.LBB3_26:                               ;   in Loop: Header=BB3_3 Depth=1
	global_load_dwordx2 v[16:17], v[4:5], off
	s_and_saveexec_b64 s[6:7], s[0:1]
	s_cbranch_execz .LBB3_30
; %bb.27:                               ;   in Loop: Header=BB3_3 Depth=1
	global_load_dwordx2 v[4:5], v3, s[18:19] offset:40
	global_load_dwordx2 v[8:9], v3, s[18:19] offset:24 glc
	global_load_dwordx2 v[12:13], v3, s[18:19]
	v_mov_b32_e32 v1, s21
	s_waitcnt vmcnt(2)
	v_add_co_u32_e32 v2, vcc, 1, v4
	v_addc_co_u32_e32 v21, vcc, 0, v5, vcc
	v_add_co_u32_e32 v18, vcc, s20, v2
	v_addc_co_u32_e32 v19, vcc, v21, v1, vcc
	v_cmp_eq_u64_e32 vcc, 0, v[18:19]
	v_cndmask_b32_e32 v19, v19, v21, vcc
	v_cndmask_b32_e32 v18, v18, v2, vcc
	v_and_b32_e32 v1, v19, v5
	v_and_b32_e32 v2, v18, v4
	v_mul_lo_u32 v1, v1, 24
	v_mul_hi_u32 v4, v2, 24
	v_mul_lo_u32 v2, v2, 24
	v_add_u32_e32 v1, v4, v1
	s_waitcnt vmcnt(0)
	v_add_co_u32_e32 v4, vcc, v12, v2
	v_addc_co_u32_e32 v5, vcc, v13, v1, vcc
	v_mov_b32_e32 v20, v8
	global_store_dwordx2 v[4:5], v[8:9], off
	v_mov_b32_e32 v21, v9
	buffer_wbl2
	s_waitcnt vmcnt(0)
	global_atomic_cmpswap_x2 v[20:21], v3, v[18:21], s[18:19] offset:24 glc
	s_waitcnt vmcnt(0)
	v_cmp_ne_u64_e32 vcc, v[20:21], v[8:9]
	s_and_b64 exec, exec, vcc
	s_cbranch_execz .LBB3_30
; %bb.28:                               ;   in Loop: Header=BB3_3 Depth=1
	s_mov_b64 s[0:1], 0
.LBB3_29:                               ;   Parent Loop BB3_3 Depth=1
                                        ; =>  This Inner Loop Header: Depth=2
	s_sleep 1
	global_store_dwordx2 v[4:5], v[20:21], off
	buffer_wbl2
	s_waitcnt vmcnt(0)
	global_atomic_cmpswap_x2 v[8:9], v3, v[18:21], s[18:19] offset:24 glc
	s_waitcnt vmcnt(0)
	v_cmp_eq_u64_e32 vcc, v[8:9], v[20:21]
	s_or_b64 s[0:1], vcc, s[0:1]
	v_pk_mov_b32 v[20:21], v[8:9], v[8:9] op_sel:[0,1]
	s_andn2_b64 exec, exec, s[0:1]
	s_cbranch_execnz .LBB3_29
.LBB3_30:                               ;   in Loop: Header=BB3_3 Depth=1
	s_or_b64 exec, exec, s[6:7]
	s_and_b64 vcc, exec, s[14:15]
	s_cbranch_vccz .LBB3_115
; %bb.31:                               ;   in Loop: Header=BB3_3 Depth=1
	s_waitcnt vmcnt(0)
	v_and_b32_e32 v8, 2, v16
	v_and_b32_e32 v18, -3, v16
	v_mov_b32_e32 v19, v17
	s_mov_b64 s[20:21], 35
	s_getpc_b64 s[6:7]
	s_add_u32 s6, s6, .str@rel32@lo+4
	s_addc_u32 s7, s7, .str@rel32@hi+12
	s_branch .LBB3_33
.LBB3_32:                               ;   in Loop: Header=BB3_33 Depth=2
	s_or_b64 exec, exec, s[26:27]
	s_sub_u32 s20, s20, s22
	s_subb_u32 s21, s21, s23
	s_add_u32 s6, s6, s22
	s_addc_u32 s7, s7, s23
	s_cmp_lg_u64 s[20:21], 0
	s_cbranch_scc0 .LBB3_114
.LBB3_33:                               ;   Parent Loop BB3_3 Depth=1
                                        ; =>  This Loop Header: Depth=2
                                        ;       Child Loop BB3_36 Depth 3
                                        ;       Child Loop BB3_43 Depth 3
	;; [unrolled: 1-line block ×11, first 2 shown]
	v_cmp_lt_u64_e64 s[0:1], s[20:21], 56
	s_and_b64 s[0:1], s[0:1], exec
	v_cmp_gt_u64_e64 s[0:1], s[20:21], 7
	s_cselect_b32 s23, s21, 0
	s_cselect_b32 s22, s20, 56
	s_and_b64 vcc, exec, s[0:1]
	s_cbranch_vccnz .LBB3_38
; %bb.34:                               ;   in Loop: Header=BB3_33 Depth=2
	s_mov_b64 s[0:1], 0
	s_cmp_eq_u64 s[20:21], 0
	s_waitcnt vmcnt(0)
	v_pk_mov_b32 v[20:21], 0, 0
	s_cbranch_scc1 .LBB3_37
; %bb.35:                               ;   in Loop: Header=BB3_33 Depth=2
	s_lshl_b64 s[24:25], s[22:23], 3
	s_mov_b64 s[26:27], 0
	v_pk_mov_b32 v[20:21], 0, 0
	s_mov_b64 s[28:29], s[6:7]
.LBB3_36:                               ;   Parent Loop BB3_3 Depth=1
                                        ;     Parent Loop BB3_33 Depth=2
                                        ; =>    This Inner Loop Header: Depth=3
	global_load_ubyte v1, v3, s[28:29]
	s_waitcnt vmcnt(0)
	v_and_b32_e32 v2, 0xffff, v1
	v_lshlrev_b64 v[4:5], s26, v[2:3]
	s_add_u32 s26, s26, 8
	s_addc_u32 s27, s27, 0
	s_add_u32 s28, s28, 1
	s_addc_u32 s29, s29, 0
	v_or_b32_e32 v20, v4, v20
	s_cmp_lg_u32 s24, s26
	v_or_b32_e32 v21, v5, v21
	s_cbranch_scc1 .LBB3_36
.LBB3_37:                               ;   in Loop: Header=BB3_33 Depth=2
	s_mov_b32 s5, 0
	s_andn2_b64 vcc, exec, s[0:1]
	s_mov_b64 s[0:1], s[6:7]
	s_cbranch_vccz .LBB3_39
	s_branch .LBB3_40
.LBB3_38:                               ;   in Loop: Header=BB3_33 Depth=2
                                        ; implicit-def: $vgpr20_vgpr21
                                        ; implicit-def: $sgpr5
	s_mov_b64 s[0:1], s[6:7]
.LBB3_39:                               ;   in Loop: Header=BB3_33 Depth=2
	global_load_dwordx2 v[20:21], v3, s[6:7]
	s_add_i32 s5, s22, -8
	s_add_u32 s0, s6, 8
	s_addc_u32 s1, s7, 0
.LBB3_40:                               ;   in Loop: Header=BB3_33 Depth=2
	s_cmp_gt_u32 s5, 7
	s_cbranch_scc1 .LBB3_44
; %bb.41:                               ;   in Loop: Header=BB3_33 Depth=2
	s_cmp_eq_u32 s5, 0
	s_cbranch_scc1 .LBB3_45
; %bb.42:                               ;   in Loop: Header=BB3_33 Depth=2
	s_mov_b64 s[24:25], 0
	v_pk_mov_b32 v[22:23], 0, 0
	s_mov_b64 s[26:27], 0
.LBB3_43:                               ;   Parent Loop BB3_3 Depth=1
                                        ;     Parent Loop BB3_33 Depth=2
                                        ; =>    This Inner Loop Header: Depth=3
	s_add_u32 s28, s0, s26
	s_addc_u32 s29, s1, s27
	global_load_ubyte v1, v3, s[28:29]
	s_add_u32 s26, s26, 1
	s_addc_u32 s27, s27, 0
	s_waitcnt vmcnt(0)
	v_and_b32_e32 v2, 0xffff, v1
	v_lshlrev_b64 v[4:5], s24, v[2:3]
	s_add_u32 s24, s24, 8
	s_addc_u32 s25, s25, 0
	v_or_b32_e32 v22, v4, v22
	s_cmp_lg_u32 s5, s26
	v_or_b32_e32 v23, v5, v23
	s_cbranch_scc1 .LBB3_43
	s_branch .LBB3_46
.LBB3_44:                               ;   in Loop: Header=BB3_33 Depth=2
                                        ; implicit-def: $vgpr22_vgpr23
                                        ; implicit-def: $sgpr28
	s_branch .LBB3_47
.LBB3_45:                               ;   in Loop: Header=BB3_33 Depth=2
	v_pk_mov_b32 v[22:23], 0, 0
.LBB3_46:                               ;   in Loop: Header=BB3_33 Depth=2
	s_mov_b32 s28, 0
	s_cbranch_execnz .LBB3_48
.LBB3_47:                               ;   in Loop: Header=BB3_33 Depth=2
	global_load_dwordx2 v[22:23], v3, s[0:1]
	s_add_i32 s28, s5, -8
	s_add_u32 s0, s0, 8
	s_addc_u32 s1, s1, 0
.LBB3_48:                               ;   in Loop: Header=BB3_33 Depth=2
	s_cmp_gt_u32 s28, 7
	s_cbranch_scc1 .LBB3_52
; %bb.49:                               ;   in Loop: Header=BB3_33 Depth=2
	s_cmp_eq_u32 s28, 0
	s_cbranch_scc1 .LBB3_53
; %bb.50:                               ;   in Loop: Header=BB3_33 Depth=2
	s_mov_b64 s[24:25], 0
	v_pk_mov_b32 v[24:25], 0, 0
	s_mov_b64 s[26:27], 0
.LBB3_51:                               ;   Parent Loop BB3_3 Depth=1
                                        ;     Parent Loop BB3_33 Depth=2
                                        ; =>    This Inner Loop Header: Depth=3
	s_add_u32 s30, s0, s26
	s_addc_u32 s31, s1, s27
	global_load_ubyte v1, v3, s[30:31]
	s_add_u32 s26, s26, 1
	s_addc_u32 s27, s27, 0
	s_waitcnt vmcnt(0)
	v_and_b32_e32 v2, 0xffff, v1
	v_lshlrev_b64 v[4:5], s24, v[2:3]
	s_add_u32 s24, s24, 8
	s_addc_u32 s25, s25, 0
	v_or_b32_e32 v24, v4, v24
	s_cmp_lg_u32 s28, s26
	v_or_b32_e32 v25, v5, v25
	s_cbranch_scc1 .LBB3_51
	s_branch .LBB3_54
.LBB3_52:                               ;   in Loop: Header=BB3_33 Depth=2
                                        ; implicit-def: $sgpr5
	s_branch .LBB3_55
.LBB3_53:                               ;   in Loop: Header=BB3_33 Depth=2
	v_pk_mov_b32 v[24:25], 0, 0
.LBB3_54:                               ;   in Loop: Header=BB3_33 Depth=2
	s_mov_b32 s5, 0
	s_cbranch_execnz .LBB3_56
.LBB3_55:                               ;   in Loop: Header=BB3_33 Depth=2
	global_load_dwordx2 v[24:25], v3, s[0:1]
	s_add_i32 s5, s28, -8
	s_add_u32 s0, s0, 8
	s_addc_u32 s1, s1, 0
.LBB3_56:                               ;   in Loop: Header=BB3_33 Depth=2
	s_cmp_gt_u32 s5, 7
	s_cbranch_scc1 .LBB3_60
; %bb.57:                               ;   in Loop: Header=BB3_33 Depth=2
	s_cmp_eq_u32 s5, 0
	s_cbranch_scc1 .LBB3_61
; %bb.58:                               ;   in Loop: Header=BB3_33 Depth=2
	s_mov_b64 s[24:25], 0
	v_pk_mov_b32 v[26:27], 0, 0
	s_mov_b64 s[26:27], 0
.LBB3_59:                               ;   Parent Loop BB3_3 Depth=1
                                        ;     Parent Loop BB3_33 Depth=2
                                        ; =>    This Inner Loop Header: Depth=3
	s_add_u32 s28, s0, s26
	s_addc_u32 s29, s1, s27
	global_load_ubyte v1, v3, s[28:29]
	s_add_u32 s26, s26, 1
	s_addc_u32 s27, s27, 0
	s_waitcnt vmcnt(0)
	v_and_b32_e32 v2, 0xffff, v1
	v_lshlrev_b64 v[4:5], s24, v[2:3]
	s_add_u32 s24, s24, 8
	s_addc_u32 s25, s25, 0
	v_or_b32_e32 v26, v4, v26
	s_cmp_lg_u32 s5, s26
	v_or_b32_e32 v27, v5, v27
	s_cbranch_scc1 .LBB3_59
	s_branch .LBB3_62
.LBB3_60:                               ;   in Loop: Header=BB3_33 Depth=2
                                        ; implicit-def: $vgpr26_vgpr27
                                        ; implicit-def: $sgpr28
	s_branch .LBB3_63
.LBB3_61:                               ;   in Loop: Header=BB3_33 Depth=2
	v_pk_mov_b32 v[26:27], 0, 0
.LBB3_62:                               ;   in Loop: Header=BB3_33 Depth=2
	s_mov_b32 s28, 0
	s_cbranch_execnz .LBB3_64
.LBB3_63:                               ;   in Loop: Header=BB3_33 Depth=2
	global_load_dwordx2 v[26:27], v3, s[0:1]
	s_add_i32 s28, s5, -8
	s_add_u32 s0, s0, 8
	s_addc_u32 s1, s1, 0
.LBB3_64:                               ;   in Loop: Header=BB3_33 Depth=2
	s_cmp_gt_u32 s28, 7
	s_cbranch_scc1 .LBB3_68
; %bb.65:                               ;   in Loop: Header=BB3_33 Depth=2
	s_cmp_eq_u32 s28, 0
	s_cbranch_scc1 .LBB3_69
; %bb.66:                               ;   in Loop: Header=BB3_33 Depth=2
	s_mov_b64 s[24:25], 0
	v_pk_mov_b32 v[28:29], 0, 0
	s_mov_b64 s[26:27], 0
.LBB3_67:                               ;   Parent Loop BB3_3 Depth=1
                                        ;     Parent Loop BB3_33 Depth=2
                                        ; =>    This Inner Loop Header: Depth=3
	s_add_u32 s30, s0, s26
	s_addc_u32 s31, s1, s27
	global_load_ubyte v1, v3, s[30:31]
	s_add_u32 s26, s26, 1
	s_addc_u32 s27, s27, 0
	s_waitcnt vmcnt(0)
	v_and_b32_e32 v2, 0xffff, v1
	v_lshlrev_b64 v[4:5], s24, v[2:3]
	s_add_u32 s24, s24, 8
	s_addc_u32 s25, s25, 0
	v_or_b32_e32 v28, v4, v28
	s_cmp_lg_u32 s28, s26
	v_or_b32_e32 v29, v5, v29
	s_cbranch_scc1 .LBB3_67
	s_branch .LBB3_70
.LBB3_68:                               ;   in Loop: Header=BB3_33 Depth=2
                                        ; implicit-def: $sgpr5
	s_branch .LBB3_71
.LBB3_69:                               ;   in Loop: Header=BB3_33 Depth=2
	v_pk_mov_b32 v[28:29], 0, 0
.LBB3_70:                               ;   in Loop: Header=BB3_33 Depth=2
	s_mov_b32 s5, 0
	s_cbranch_execnz .LBB3_72
.LBB3_71:                               ;   in Loop: Header=BB3_33 Depth=2
	global_load_dwordx2 v[28:29], v3, s[0:1]
	s_add_i32 s5, s28, -8
	s_add_u32 s0, s0, 8
	s_addc_u32 s1, s1, 0
.LBB3_72:                               ;   in Loop: Header=BB3_33 Depth=2
	s_cmp_gt_u32 s5, 7
	s_cbranch_scc1 .LBB3_76
; %bb.73:                               ;   in Loop: Header=BB3_33 Depth=2
	s_cmp_eq_u32 s5, 0
	s_cbranch_scc1 .LBB3_77
; %bb.74:                               ;   in Loop: Header=BB3_33 Depth=2
	s_mov_b64 s[24:25], 0
	v_pk_mov_b32 v[30:31], 0, 0
	s_mov_b64 s[26:27], 0
.LBB3_75:                               ;   Parent Loop BB3_3 Depth=1
                                        ;     Parent Loop BB3_33 Depth=2
                                        ; =>    This Inner Loop Header: Depth=3
	s_add_u32 s28, s0, s26
	s_addc_u32 s29, s1, s27
	global_load_ubyte v1, v3, s[28:29]
	s_add_u32 s26, s26, 1
	s_addc_u32 s27, s27, 0
	s_waitcnt vmcnt(0)
	v_and_b32_e32 v2, 0xffff, v1
	v_lshlrev_b64 v[4:5], s24, v[2:3]
	s_add_u32 s24, s24, 8
	s_addc_u32 s25, s25, 0
	v_or_b32_e32 v30, v4, v30
	s_cmp_lg_u32 s5, s26
	v_or_b32_e32 v31, v5, v31
	s_cbranch_scc1 .LBB3_75
	s_branch .LBB3_78
.LBB3_76:                               ;   in Loop: Header=BB3_33 Depth=2
                                        ; implicit-def: $vgpr30_vgpr31
                                        ; implicit-def: $sgpr28
	s_branch .LBB3_79
.LBB3_77:                               ;   in Loop: Header=BB3_33 Depth=2
	v_pk_mov_b32 v[30:31], 0, 0
.LBB3_78:                               ;   in Loop: Header=BB3_33 Depth=2
	s_mov_b32 s28, 0
	s_cbranch_execnz .LBB3_80
.LBB3_79:                               ;   in Loop: Header=BB3_33 Depth=2
	global_load_dwordx2 v[30:31], v3, s[0:1]
	s_add_i32 s28, s5, -8
	s_add_u32 s0, s0, 8
	s_addc_u32 s1, s1, 0
.LBB3_80:                               ;   in Loop: Header=BB3_33 Depth=2
	s_cmp_gt_u32 s28, 7
	s_cbranch_scc1 .LBB3_84
; %bb.81:                               ;   in Loop: Header=BB3_33 Depth=2
	s_cmp_eq_u32 s28, 0
	s_cbranch_scc1 .LBB3_85
; %bb.82:                               ;   in Loop: Header=BB3_33 Depth=2
	s_mov_b64 s[24:25], 0
	v_pk_mov_b32 v[32:33], 0, 0
	s_mov_b64 s[26:27], s[0:1]
.LBB3_83:                               ;   Parent Loop BB3_3 Depth=1
                                        ;     Parent Loop BB3_33 Depth=2
                                        ; =>    This Inner Loop Header: Depth=3
	global_load_ubyte v1, v3, s[26:27]
	s_add_i32 s28, s28, -1
	s_waitcnt vmcnt(0)
	v_and_b32_e32 v2, 0xffff, v1
	v_lshlrev_b64 v[4:5], s24, v[2:3]
	s_add_u32 s24, s24, 8
	s_addc_u32 s25, s25, 0
	s_add_u32 s26, s26, 1
	s_addc_u32 s27, s27, 0
	v_or_b32_e32 v32, v4, v32
	s_cmp_lg_u32 s28, 0
	v_or_b32_e32 v33, v5, v33
	s_cbranch_scc1 .LBB3_83
	s_branch .LBB3_86
.LBB3_84:                               ;   in Loop: Header=BB3_33 Depth=2
	s_branch .LBB3_87
.LBB3_85:                               ;   in Loop: Header=BB3_33 Depth=2
	v_pk_mov_b32 v[32:33], 0, 0
.LBB3_86:                               ;   in Loop: Header=BB3_33 Depth=2
	s_cbranch_execnz .LBB3_88
.LBB3_87:                               ;   in Loop: Header=BB3_33 Depth=2
	global_load_dwordx2 v[32:33], v3, s[0:1]
.LBB3_88:                               ;   in Loop: Header=BB3_33 Depth=2
	v_readfirstlane_b32 s0, v41
	v_cmp_eq_u32_e64 s[0:1], s0, v41
	v_pk_mov_b32 v[4:5], 0, 0
	s_and_saveexec_b64 s[24:25], s[0:1]
	s_cbranch_execz .LBB3_94
; %bb.89:                               ;   in Loop: Header=BB3_33 Depth=2
	global_load_dwordx2 v[36:37], v3, s[18:19] offset:24 glc
	s_waitcnt vmcnt(0)
	buffer_invl2
	buffer_wbinvl1_vol
	global_load_dwordx2 v[4:5], v3, s[18:19] offset:40
	global_load_dwordx2 v[12:13], v3, s[18:19]
	s_waitcnt vmcnt(1)
	v_and_b32_e32 v1, v4, v36
	v_and_b32_e32 v2, v5, v37
	v_mul_lo_u32 v2, v2, 24
	v_mul_hi_u32 v4, v1, 24
	v_mul_lo_u32 v1, v1, 24
	v_add_u32_e32 v2, v4, v2
	s_waitcnt vmcnt(0)
	v_add_co_u32_e32 v4, vcc, v12, v1
	v_addc_co_u32_e32 v5, vcc, v13, v2, vcc
	global_load_dwordx2 v[34:35], v[4:5], off glc
	s_waitcnt vmcnt(0)
	global_atomic_cmpswap_x2 v[4:5], v3, v[34:37], s[18:19] offset:24 glc
	s_waitcnt vmcnt(0)
	buffer_invl2
	buffer_wbinvl1_vol
	v_cmp_ne_u64_e32 vcc, v[4:5], v[36:37]
	s_and_saveexec_b64 s[26:27], vcc
	s_cbranch_execz .LBB3_93
; %bb.90:                               ;   in Loop: Header=BB3_33 Depth=2
	s_mov_b64 s[28:29], 0
.LBB3_91:                               ;   Parent Loop BB3_3 Depth=1
                                        ;     Parent Loop BB3_33 Depth=2
                                        ; =>    This Inner Loop Header: Depth=3
	s_sleep 1
	global_load_dwordx2 v[12:13], v3, s[18:19] offset:40
	global_load_dwordx2 v[34:35], v3, s[18:19]
	v_pk_mov_b32 v[36:37], v[4:5], v[4:5] op_sel:[0,1]
	s_waitcnt vmcnt(1)
	v_and_b32_e32 v2, v12, v36
	s_waitcnt vmcnt(0)
	v_mad_u64_u32 v[4:5], s[30:31], v2, 24, v[34:35]
	v_and_b32_e32 v1, v13, v37
	v_mov_b32_e32 v2, v5
	v_mad_u64_u32 v[12:13], s[30:31], v1, 24, v[2:3]
	v_mov_b32_e32 v5, v12
	global_load_dwordx2 v[34:35], v[4:5], off glc
	s_waitcnt vmcnt(0)
	global_atomic_cmpswap_x2 v[4:5], v3, v[34:37], s[18:19] offset:24 glc
	s_waitcnt vmcnt(0)
	buffer_invl2
	buffer_wbinvl1_vol
	v_cmp_eq_u64_e32 vcc, v[4:5], v[36:37]
	s_or_b64 s[28:29], vcc, s[28:29]
	s_andn2_b64 exec, exec, s[28:29]
	s_cbranch_execnz .LBB3_91
; %bb.92:                               ;   in Loop: Header=BB3_33 Depth=2
	s_or_b64 exec, exec, s[28:29]
.LBB3_93:                               ;   in Loop: Header=BB3_33 Depth=2
	s_or_b64 exec, exec, s[26:27]
.LBB3_94:                               ;   in Loop: Header=BB3_33 Depth=2
	s_or_b64 exec, exec, s[24:25]
	global_load_dwordx2 v[12:13], v3, s[18:19] offset:40
	global_load_dwordx4 v[34:37], v3, s[18:19]
	v_readfirstlane_b32 s24, v4
	v_readfirstlane_b32 s25, v5
	s_mov_b64 s[26:27], exec
	s_waitcnt vmcnt(1)
	v_readfirstlane_b32 s28, v12
	v_readfirstlane_b32 s29, v13
	s_and_b64 s[28:29], s[24:25], s[28:29]
	s_mul_i32 s5, s29, 24
	s_mul_hi_u32 s30, s28, 24
	s_mul_i32 s31, s28, 24
	s_add_i32 s5, s30, s5
	v_mov_b32_e32 v1, s5
	s_waitcnt vmcnt(0)
	v_add_co_u32_e32 v12, vcc, s31, v34
	v_addc_co_u32_e32 v13, vcc, v35, v1, vcc
	s_and_saveexec_b64 s[30:31], s[0:1]
	s_cbranch_execz .LBB3_96
; %bb.95:                               ;   in Loop: Header=BB3_33 Depth=2
	v_pk_mov_b32 v[4:5], s[26:27], s[26:27] op_sel:[0,1]
	global_store_dwordx4 v[12:13], v[4:7], off offset:8
.LBB3_96:                               ;   in Loop: Header=BB3_33 Depth=2
	s_or_b64 exec, exec, s[30:31]
	s_lshl_b64 s[26:27], s[28:29], 12
	v_mov_b32_e32 v1, s27
	v_add_co_u32_e32 v4, vcc, s26, v36
	v_addc_co_u32_e32 v1, vcc, v37, v1, vcc
	v_or_b32_e32 v2, 0, v19
	v_or_b32_e32 v5, v18, v8
	v_cmp_gt_u64_e64 vcc, s[20:21], 56
	s_lshl_b32 s5, s22, 2
	v_cndmask_b32_e32 v19, v2, v19, vcc
	v_cndmask_b32_e32 v2, v5, v18, vcc
	s_add_i32 s5, s5, 28
	s_and_b32 s5, s5, 0x1e0
	v_and_b32_e32 v2, 0xffffff1f, v2
	v_or_b32_e32 v18, s5, v2
	v_readfirstlane_b32 s26, v4
	v_readfirstlane_b32 s27, v1
	s_nop 4
	global_store_dwordx4 v42, v[18:21], s[26:27]
	global_store_dwordx4 v42, v[22:25], s[26:27] offset:16
	global_store_dwordx4 v42, v[26:29], s[26:27] offset:32
	;; [unrolled: 1-line block ×3, first 2 shown]
	s_and_saveexec_b64 s[26:27], s[0:1]
	s_cbranch_execz .LBB3_104
; %bb.97:                               ;   in Loop: Header=BB3_33 Depth=2
	global_load_dwordx2 v[26:27], v3, s[18:19] offset:32 glc
	global_load_dwordx2 v[18:19], v3, s[18:19] offset:40
	v_mov_b32_e32 v24, s24
	v_mov_b32_e32 v25, s25
	s_waitcnt vmcnt(0)
	v_readfirstlane_b32 s28, v18
	v_readfirstlane_b32 s29, v19
	s_and_b64 s[28:29], s[28:29], s[24:25]
	s_mul_i32 s5, s29, 24
	s_mul_hi_u32 s29, s28, 24
	s_mul_i32 s28, s28, 24
	s_add_i32 s5, s29, s5
	v_mov_b32_e32 v2, s5
	v_add_co_u32_e32 v22, vcc, s28, v34
	v_addc_co_u32_e32 v23, vcc, v35, v2, vcc
	global_store_dwordx2 v[22:23], v[26:27], off
	buffer_wbl2
	s_waitcnt vmcnt(0)
	global_atomic_cmpswap_x2 v[20:21], v3, v[24:27], s[18:19] offset:32 glc
	s_waitcnt vmcnt(0)
	v_cmp_ne_u64_e32 vcc, v[20:21], v[26:27]
	s_and_saveexec_b64 s[28:29], vcc
	s_cbranch_execz .LBB3_100
; %bb.98:                               ;   in Loop: Header=BB3_33 Depth=2
	s_mov_b64 s[30:31], 0
.LBB3_99:                               ;   Parent Loop BB3_3 Depth=1
                                        ;     Parent Loop BB3_33 Depth=2
                                        ; =>    This Inner Loop Header: Depth=3
	s_sleep 1
	global_store_dwordx2 v[22:23], v[20:21], off
	v_mov_b32_e32 v18, s24
	v_mov_b32_e32 v19, s25
	buffer_wbl2
	s_waitcnt vmcnt(0)
	global_atomic_cmpswap_x2 v[18:19], v3, v[18:21], s[18:19] offset:32 glc
	s_waitcnt vmcnt(0)
	v_cmp_eq_u64_e32 vcc, v[18:19], v[20:21]
	s_or_b64 s[30:31], vcc, s[30:31]
	v_pk_mov_b32 v[20:21], v[18:19], v[18:19] op_sel:[0,1]
	s_andn2_b64 exec, exec, s[30:31]
	s_cbranch_execnz .LBB3_99
.LBB3_100:                              ;   in Loop: Header=BB3_33 Depth=2
	s_or_b64 exec, exec, s[28:29]
	global_load_dwordx2 v[18:19], v3, s[18:19] offset:16
	s_mov_b64 s[30:31], exec
	v_mbcnt_lo_u32_b32 v2, s30, 0
	v_mbcnt_hi_u32_b32 v2, s31, v2
	v_cmp_eq_u32_e32 vcc, 0, v2
	s_and_saveexec_b64 s[28:29], vcc
	s_cbranch_execz .LBB3_102
; %bb.101:                              ;   in Loop: Header=BB3_33 Depth=2
	s_bcnt1_i32_b64 s5, s[30:31]
	v_mov_b32_e32 v2, s5
	buffer_wbl2
	s_waitcnt vmcnt(0)
	global_atomic_add_x2 v[18:19], v[2:3], off offset:8
.LBB3_102:                              ;   in Loop: Header=BB3_33 Depth=2
	s_or_b64 exec, exec, s[28:29]
	s_waitcnt vmcnt(0)
	global_load_dwordx2 v[20:21], v[18:19], off offset:16
	s_waitcnt vmcnt(0)
	v_cmp_eq_u64_e32 vcc, 0, v[20:21]
	s_cbranch_vccnz .LBB3_104
; %bb.103:                              ;   in Loop: Header=BB3_33 Depth=2
	global_load_dword v2, v[18:19], off offset:24
	buffer_wbl2
	s_waitcnt vmcnt(0)
	global_store_dwordx2 v[20:21], v[2:3], off
	v_and_b32_e32 v2, 0xffffff, v2
	v_readfirstlane_b32 m0, v2
	s_sendmsg sendmsg(MSG_INTERRUPT)
.LBB3_104:                              ;   in Loop: Header=BB3_33 Depth=2
	s_or_b64 exec, exec, s[26:27]
	v_add_co_u32_e32 v4, vcc, v4, v42
	v_addc_co_u32_e32 v5, vcc, 0, v1, vcc
	s_branch .LBB3_108
.LBB3_105:                              ;   in Loop: Header=BB3_108 Depth=3
	s_or_b64 exec, exec, s[26:27]
	v_readfirstlane_b32 s5, v1
	s_cmp_eq_u32 s5, 0
	s_cbranch_scc1 .LBB3_107
; %bb.106:                              ;   in Loop: Header=BB3_108 Depth=3
	s_sleep 1
	s_cbranch_execnz .LBB3_108
	s_branch .LBB3_110
.LBB3_107:                              ;   in Loop: Header=BB3_33 Depth=2
	s_branch .LBB3_110
.LBB3_108:                              ;   Parent Loop BB3_3 Depth=1
                                        ;     Parent Loop BB3_33 Depth=2
                                        ; =>    This Inner Loop Header: Depth=3
	v_mov_b32_e32 v1, 1
	s_and_saveexec_b64 s[26:27], s[0:1]
	s_cbranch_execz .LBB3_105
; %bb.109:                              ;   in Loop: Header=BB3_108 Depth=3
	global_load_dword v1, v[12:13], off offset:20 glc
	s_waitcnt vmcnt(0)
	buffer_invl2
	buffer_wbinvl1_vol
	v_and_b32_e32 v1, 1, v1
	s_branch .LBB3_105
.LBB3_110:                              ;   in Loop: Header=BB3_33 Depth=2
	global_load_dwordx4 v[18:21], v[4:5], off
	s_and_saveexec_b64 s[26:27], s[0:1]
	s_cbranch_execz .LBB3_32
; %bb.111:                              ;   in Loop: Header=BB3_33 Depth=2
	global_load_dwordx2 v[4:5], v3, s[18:19] offset:40
	global_load_dwordx2 v[12:13], v3, s[18:19] offset:24 glc
	global_load_dwordx2 v[24:25], v3, s[18:19]
	v_mov_b32_e32 v1, s25
	s_waitcnt vmcnt(2)
	v_add_co_u32_e32 v2, vcc, 1, v4
	v_addc_co_u32_e32 v9, vcc, 0, v5, vcc
	v_add_co_u32_e32 v20, vcc, s24, v2
	v_addc_co_u32_e32 v21, vcc, v9, v1, vcc
	v_cmp_eq_u64_e32 vcc, 0, v[20:21]
	v_cndmask_b32_e32 v21, v21, v9, vcc
	v_cndmask_b32_e32 v20, v20, v2, vcc
	v_and_b32_e32 v1, v21, v5
	v_and_b32_e32 v2, v20, v4
	v_mul_lo_u32 v1, v1, 24
	v_mul_hi_u32 v4, v2, 24
	v_mul_lo_u32 v2, v2, 24
	v_add_u32_e32 v1, v4, v1
	s_waitcnt vmcnt(0)
	v_add_co_u32_e32 v4, vcc, v24, v2
	v_addc_co_u32_e32 v5, vcc, v25, v1, vcc
	v_mov_b32_e32 v22, v12
	global_store_dwordx2 v[4:5], v[12:13], off
	v_mov_b32_e32 v23, v13
	buffer_wbl2
	s_waitcnt vmcnt(0)
	global_atomic_cmpswap_x2 v[22:23], v3, v[20:23], s[18:19] offset:24 glc
	s_waitcnt vmcnt(0)
	v_cmp_ne_u64_e32 vcc, v[22:23], v[12:13]
	s_and_b64 exec, exec, vcc
	s_cbranch_execz .LBB3_32
; %bb.112:                              ;   in Loop: Header=BB3_33 Depth=2
	s_mov_b64 s[0:1], 0
.LBB3_113:                              ;   Parent Loop BB3_3 Depth=1
                                        ;     Parent Loop BB3_33 Depth=2
                                        ; =>    This Inner Loop Header: Depth=3
	s_sleep 1
	global_store_dwordx2 v[4:5], v[22:23], off
	buffer_wbl2
	s_waitcnt vmcnt(0)
	global_atomic_cmpswap_x2 v[12:13], v3, v[20:23], s[18:19] offset:24 glc
	s_waitcnt vmcnt(0)
	v_cmp_eq_u64_e32 vcc, v[12:13], v[22:23]
	s_or_b64 s[0:1], vcc, s[0:1]
	v_pk_mov_b32 v[22:23], v[12:13], v[12:13] op_sel:[0,1]
	s_andn2_b64 exec, exec, s[0:1]
	s_cbranch_execnz .LBB3_113
	s_branch .LBB3_32
.LBB3_114:                              ;   in Loop: Header=BB3_3 Depth=1
	s_branch .LBB3_143
.LBB3_115:                              ;   in Loop: Header=BB3_3 Depth=1
                                        ; implicit-def: $vgpr18_vgpr19
	s_cbranch_execz .LBB3_143
; %bb.116:                              ;   in Loop: Header=BB3_3 Depth=1
	v_readfirstlane_b32 s0, v41
	v_cmp_eq_u32_e64 s[0:1], s0, v41
	v_pk_mov_b32 v[4:5], 0, 0
	s_and_saveexec_b64 s[6:7], s[0:1]
	s_cbranch_execz .LBB3_122
; %bb.117:                              ;   in Loop: Header=BB3_3 Depth=1
	global_load_dwordx2 v[20:21], v3, s[18:19] offset:24 glc
	s_waitcnt vmcnt(0)
	buffer_invl2
	buffer_wbinvl1_vol
	global_load_dwordx2 v[4:5], v3, s[18:19] offset:40
	global_load_dwordx2 v[8:9], v3, s[18:19]
	s_waitcnt vmcnt(1)
	v_and_b32_e32 v1, v4, v20
	v_and_b32_e32 v2, v5, v21
	v_mul_lo_u32 v2, v2, 24
	v_mul_hi_u32 v4, v1, 24
	v_mul_lo_u32 v1, v1, 24
	v_add_u32_e32 v2, v4, v2
	s_waitcnt vmcnt(0)
	v_add_co_u32_e32 v4, vcc, v8, v1
	v_addc_co_u32_e32 v5, vcc, v9, v2, vcc
	global_load_dwordx2 v[18:19], v[4:5], off glc
	s_waitcnt vmcnt(0)
	global_atomic_cmpswap_x2 v[4:5], v3, v[18:21], s[18:19] offset:24 glc
	s_waitcnt vmcnt(0)
	buffer_invl2
	buffer_wbinvl1_vol
	v_cmp_ne_u64_e32 vcc, v[4:5], v[20:21]
	s_and_saveexec_b64 s[20:21], vcc
	s_cbranch_execz .LBB3_121
; %bb.118:                              ;   in Loop: Header=BB3_3 Depth=1
	s_mov_b64 s[22:23], 0
.LBB3_119:                              ;   Parent Loop BB3_3 Depth=1
                                        ; =>  This Inner Loop Header: Depth=2
	s_sleep 1
	global_load_dwordx2 v[8:9], v3, s[18:19] offset:40
	global_load_dwordx2 v[12:13], v3, s[18:19]
	v_pk_mov_b32 v[20:21], v[4:5], v[4:5] op_sel:[0,1]
	s_waitcnt vmcnt(1)
	v_and_b32_e32 v2, v8, v20
	s_waitcnt vmcnt(0)
	v_mad_u64_u32 v[4:5], s[24:25], v2, 24, v[12:13]
	v_and_b32_e32 v1, v9, v21
	v_mov_b32_e32 v2, v5
	v_mad_u64_u32 v[8:9], s[24:25], v1, 24, v[2:3]
	v_mov_b32_e32 v5, v8
	global_load_dwordx2 v[18:19], v[4:5], off glc
	s_waitcnt vmcnt(0)
	global_atomic_cmpswap_x2 v[4:5], v3, v[18:21], s[18:19] offset:24 glc
	s_waitcnt vmcnt(0)
	buffer_invl2
	buffer_wbinvl1_vol
	v_cmp_eq_u64_e32 vcc, v[4:5], v[20:21]
	s_or_b64 s[22:23], vcc, s[22:23]
	s_andn2_b64 exec, exec, s[22:23]
	s_cbranch_execnz .LBB3_119
; %bb.120:                              ;   in Loop: Header=BB3_3 Depth=1
	s_or_b64 exec, exec, s[22:23]
.LBB3_121:                              ;   in Loop: Header=BB3_3 Depth=1
	s_or_b64 exec, exec, s[20:21]
.LBB3_122:                              ;   in Loop: Header=BB3_3 Depth=1
	s_or_b64 exec, exec, s[6:7]
	global_load_dwordx2 v[8:9], v3, s[18:19] offset:40
	global_load_dwordx4 v[20:23], v3, s[18:19]
	v_readfirstlane_b32 s20, v4
	v_readfirstlane_b32 s21, v5
	s_mov_b64 s[6:7], exec
	s_waitcnt vmcnt(1)
	v_readfirstlane_b32 s22, v8
	v_readfirstlane_b32 s23, v9
	s_and_b64 s[22:23], s[20:21], s[22:23]
	s_mul_i32 s5, s23, 24
	s_mul_hi_u32 s24, s22, 24
	s_mul_i32 s25, s22, 24
	s_add_i32 s5, s24, s5
	v_mov_b32_e32 v1, s5
	s_waitcnt vmcnt(0)
	v_add_co_u32_e32 v8, vcc, s25, v20
	v_addc_co_u32_e32 v9, vcc, v21, v1, vcc
	s_and_saveexec_b64 s[24:25], s[0:1]
	s_cbranch_execz .LBB3_124
; %bb.123:                              ;   in Loop: Header=BB3_3 Depth=1
	v_pk_mov_b32 v[4:5], s[6:7], s[6:7] op_sel:[0,1]
	global_store_dwordx4 v[8:9], v[4:7], off offset:8
.LBB3_124:                              ;   in Loop: Header=BB3_3 Depth=1
	s_or_b64 exec, exec, s[24:25]
	s_lshl_b64 s[6:7], s[22:23], 12
	v_mov_b32_e32 v1, s7
	v_add_co_u32_e32 v4, vcc, s6, v22
	v_addc_co_u32_e32 v1, vcc, v23, v1, vcc
	v_and_or_b32 v16, v16, s9, 32
	v_mov_b32_e32 v18, v3
	v_mov_b32_e32 v19, v3
	v_readfirstlane_b32 s22, v4
	v_readfirstlane_b32 s23, v1
	s_mov_b32 s6, s4
	s_mov_b32 s7, s4
	;; [unrolled: 1-line block ×3, first 2 shown]
	s_nop 1
	global_store_dwordx4 v42, v[16:19], s[22:23]
	s_nop 0
	v_pk_mov_b32 v[18:19], s[6:7], s[6:7] op_sel:[0,1]
	v_pk_mov_b32 v[16:17], s[4:5], s[4:5] op_sel:[0,1]
	global_store_dwordx4 v42, v[16:19], s[22:23] offset:16
	global_store_dwordx4 v42, v[16:19], s[22:23] offset:32
	;; [unrolled: 1-line block ×3, first 2 shown]
	s_and_saveexec_b64 s[6:7], s[0:1]
	s_cbranch_execz .LBB3_132
; %bb.125:                              ;   in Loop: Header=BB3_3 Depth=1
	global_load_dwordx2 v[24:25], v3, s[18:19] offset:32 glc
	global_load_dwordx2 v[12:13], v3, s[18:19] offset:40
	v_mov_b32_e32 v22, s20
	v_mov_b32_e32 v23, s21
	s_waitcnt vmcnt(0)
	v_readfirstlane_b32 s22, v12
	v_readfirstlane_b32 s23, v13
	s_and_b64 s[22:23], s[22:23], s[20:21]
	s_mul_i32 s5, s23, 24
	s_mul_hi_u32 s23, s22, 24
	s_mul_i32 s22, s22, 24
	s_add_i32 s5, s23, s5
	v_mov_b32_e32 v2, s5
	v_add_co_u32_e32 v12, vcc, s22, v20
	v_addc_co_u32_e32 v13, vcc, v21, v2, vcc
	global_store_dwordx2 v[12:13], v[24:25], off
	buffer_wbl2
	s_waitcnt vmcnt(0)
	global_atomic_cmpswap_x2 v[18:19], v3, v[22:25], s[18:19] offset:32 glc
	s_waitcnt vmcnt(0)
	v_cmp_ne_u64_e32 vcc, v[18:19], v[24:25]
	s_and_saveexec_b64 s[22:23], vcc
	s_cbranch_execz .LBB3_128
; %bb.126:                              ;   in Loop: Header=BB3_3 Depth=1
	s_mov_b64 s[24:25], 0
.LBB3_127:                              ;   Parent Loop BB3_3 Depth=1
                                        ; =>  This Inner Loop Header: Depth=2
	s_sleep 1
	global_store_dwordx2 v[12:13], v[18:19], off
	v_mov_b32_e32 v16, s20
	v_mov_b32_e32 v17, s21
	buffer_wbl2
	s_waitcnt vmcnt(0)
	global_atomic_cmpswap_x2 v[16:17], v3, v[16:19], s[18:19] offset:32 glc
	s_waitcnt vmcnt(0)
	v_cmp_eq_u64_e32 vcc, v[16:17], v[18:19]
	s_or_b64 s[24:25], vcc, s[24:25]
	v_pk_mov_b32 v[18:19], v[16:17], v[16:17] op_sel:[0,1]
	s_andn2_b64 exec, exec, s[24:25]
	s_cbranch_execnz .LBB3_127
.LBB3_128:                              ;   in Loop: Header=BB3_3 Depth=1
	s_or_b64 exec, exec, s[22:23]
	global_load_dwordx2 v[12:13], v3, s[18:19] offset:16
	s_mov_b64 s[24:25], exec
	v_mbcnt_lo_u32_b32 v2, s24, 0
	v_mbcnt_hi_u32_b32 v2, s25, v2
	v_cmp_eq_u32_e32 vcc, 0, v2
	s_and_saveexec_b64 s[22:23], vcc
	s_cbranch_execz .LBB3_130
; %bb.129:                              ;   in Loop: Header=BB3_3 Depth=1
	s_bcnt1_i32_b64 s5, s[24:25]
	v_mov_b32_e32 v2, s5
	buffer_wbl2
	s_waitcnt vmcnt(0)
	global_atomic_add_x2 v[12:13], v[2:3], off offset:8
.LBB3_130:                              ;   in Loop: Header=BB3_3 Depth=1
	s_or_b64 exec, exec, s[22:23]
	s_waitcnt vmcnt(0)
	global_load_dwordx2 v[16:17], v[12:13], off offset:16
	s_waitcnt vmcnt(0)
	v_cmp_eq_u64_e32 vcc, 0, v[16:17]
	s_cbranch_vccnz .LBB3_132
; %bb.131:                              ;   in Loop: Header=BB3_3 Depth=1
	global_load_dword v2, v[12:13], off offset:24
	buffer_wbl2
	s_waitcnt vmcnt(0)
	global_store_dwordx2 v[16:17], v[2:3], off
	v_and_b32_e32 v2, 0xffffff, v2
	v_readfirstlane_b32 m0, v2
	s_sendmsg sendmsg(MSG_INTERRUPT)
.LBB3_132:                              ;   in Loop: Header=BB3_3 Depth=1
	s_or_b64 exec, exec, s[6:7]
	v_add_co_u32_e32 v4, vcc, v4, v42
	v_addc_co_u32_e32 v5, vcc, 0, v1, vcc
	s_branch .LBB3_136
.LBB3_133:                              ;   in Loop: Header=BB3_136 Depth=2
	s_or_b64 exec, exec, s[6:7]
	v_readfirstlane_b32 s5, v1
	s_cmp_eq_u32 s5, 0
	s_cbranch_scc1 .LBB3_135
; %bb.134:                              ;   in Loop: Header=BB3_136 Depth=2
	s_sleep 1
	s_cbranch_execnz .LBB3_136
	s_branch .LBB3_138
.LBB3_135:                              ;   in Loop: Header=BB3_3 Depth=1
	s_branch .LBB3_138
.LBB3_136:                              ;   Parent Loop BB3_3 Depth=1
                                        ; =>  This Inner Loop Header: Depth=2
	v_mov_b32_e32 v1, 1
	s_and_saveexec_b64 s[6:7], s[0:1]
	s_cbranch_execz .LBB3_133
; %bb.137:                              ;   in Loop: Header=BB3_136 Depth=2
	global_load_dword v1, v[8:9], off offset:20 glc
	s_waitcnt vmcnt(0)
	buffer_invl2
	buffer_wbinvl1_vol
	v_and_b32_e32 v1, 1, v1
	s_branch .LBB3_133
.LBB3_138:                              ;   in Loop: Header=BB3_3 Depth=1
	global_load_dwordx2 v[18:19], v[4:5], off
	s_and_saveexec_b64 s[6:7], s[0:1]
	s_cbranch_execz .LBB3_142
; %bb.139:                              ;   in Loop: Header=BB3_3 Depth=1
	global_load_dwordx2 v[4:5], v3, s[18:19] offset:40
	global_load_dwordx2 v[8:9], v3, s[18:19] offset:24 glc
	global_load_dwordx2 v[12:13], v3, s[18:19]
	v_mov_b32_e32 v1, s21
	s_waitcnt vmcnt(2)
	v_add_co_u32_e32 v2, vcc, 1, v4
	v_addc_co_u32_e32 v20, vcc, 0, v5, vcc
	v_add_co_u32_e32 v16, vcc, s20, v2
	v_addc_co_u32_e32 v17, vcc, v20, v1, vcc
	v_cmp_eq_u64_e32 vcc, 0, v[16:17]
	v_cndmask_b32_e32 v21, v17, v20, vcc
	v_cndmask_b32_e32 v20, v16, v2, vcc
	v_and_b32_e32 v1, v21, v5
	v_and_b32_e32 v2, v20, v4
	v_mul_lo_u32 v1, v1, 24
	v_mul_hi_u32 v4, v2, 24
	v_mul_lo_u32 v2, v2, 24
	v_add_u32_e32 v1, v4, v1
	s_waitcnt vmcnt(0)
	v_add_co_u32_e32 v4, vcc, v12, v2
	v_addc_co_u32_e32 v5, vcc, v13, v1, vcc
	v_mov_b32_e32 v22, v8
	global_store_dwordx2 v[4:5], v[8:9], off
	v_mov_b32_e32 v23, v9
	buffer_wbl2
	s_waitcnt vmcnt(0)
	global_atomic_cmpswap_x2 v[22:23], v3, v[20:23], s[18:19] offset:24 glc
	s_waitcnt vmcnt(0)
	v_cmp_ne_u64_e32 vcc, v[22:23], v[8:9]
	s_and_b64 exec, exec, vcc
	s_cbranch_execz .LBB3_142
; %bb.140:                              ;   in Loop: Header=BB3_3 Depth=1
	s_mov_b64 s[0:1], 0
.LBB3_141:                              ;   Parent Loop BB3_3 Depth=1
                                        ; =>  This Inner Loop Header: Depth=2
	s_sleep 1
	global_store_dwordx2 v[4:5], v[22:23], off
	buffer_wbl2
	s_waitcnt vmcnt(0)
	global_atomic_cmpswap_x2 v[8:9], v3, v[20:23], s[18:19] offset:24 glc
	s_waitcnt vmcnt(0)
	v_cmp_eq_u64_e32 vcc, v[8:9], v[22:23]
	s_or_b64 s[0:1], vcc, s[0:1]
	v_pk_mov_b32 v[22:23], v[8:9], v[8:9] op_sel:[0,1]
	s_andn2_b64 exec, exec, s[0:1]
	s_cbranch_execnz .LBB3_141
.LBB3_142:                              ;   in Loop: Header=BB3_3 Depth=1
	s_or_b64 exec, exec, s[6:7]
.LBB3_143:                              ;   in Loop: Header=BB3_3 Depth=1
	v_readfirstlane_b32 s0, v41
	v_cmp_eq_u32_e64 s[0:1], s0, v41
	v_pk_mov_b32 v[4:5], 0, 0
	s_and_saveexec_b64 s[6:7], s[0:1]
	s_cbranch_execz .LBB3_149
; %bb.144:                              ;   in Loop: Header=BB3_3 Depth=1
	global_load_dwordx2 v[22:23], v3, s[18:19] offset:24 glc
	s_waitcnt vmcnt(0)
	buffer_invl2
	buffer_wbinvl1_vol
	global_load_dwordx2 v[4:5], v3, s[18:19] offset:40
	global_load_dwordx2 v[8:9], v3, s[18:19]
	s_waitcnt vmcnt(1)
	v_and_b32_e32 v1, v4, v22
	v_and_b32_e32 v2, v5, v23
	v_mul_lo_u32 v2, v2, 24
	v_mul_hi_u32 v4, v1, 24
	v_mul_lo_u32 v1, v1, 24
	v_add_u32_e32 v2, v4, v2
	s_waitcnt vmcnt(0)
	v_add_co_u32_e32 v4, vcc, v8, v1
	v_addc_co_u32_e32 v5, vcc, v9, v2, vcc
	global_load_dwordx2 v[20:21], v[4:5], off glc
	s_waitcnt vmcnt(0)
	global_atomic_cmpswap_x2 v[4:5], v3, v[20:23], s[18:19] offset:24 glc
	s_waitcnt vmcnt(0)
	buffer_invl2
	buffer_wbinvl1_vol
	v_cmp_ne_u64_e32 vcc, v[4:5], v[22:23]
	s_and_saveexec_b64 s[20:21], vcc
	s_cbranch_execz .LBB3_148
; %bb.145:                              ;   in Loop: Header=BB3_3 Depth=1
	s_mov_b64 s[22:23], 0
.LBB3_146:                              ;   Parent Loop BB3_3 Depth=1
                                        ; =>  This Inner Loop Header: Depth=2
	s_sleep 1
	global_load_dwordx2 v[8:9], v3, s[18:19] offset:40
	global_load_dwordx2 v[12:13], v3, s[18:19]
	v_pk_mov_b32 v[22:23], v[4:5], v[4:5] op_sel:[0,1]
	s_waitcnt vmcnt(1)
	v_and_b32_e32 v2, v8, v22
	s_waitcnt vmcnt(0)
	v_mad_u64_u32 v[4:5], s[24:25], v2, 24, v[12:13]
	v_and_b32_e32 v1, v9, v23
	v_mov_b32_e32 v2, v5
	v_mad_u64_u32 v[8:9], s[24:25], v1, 24, v[2:3]
	v_mov_b32_e32 v5, v8
	global_load_dwordx2 v[20:21], v[4:5], off glc
	s_waitcnt vmcnt(0)
	global_atomic_cmpswap_x2 v[4:5], v3, v[20:23], s[18:19] offset:24 glc
	s_waitcnt vmcnt(0)
	buffer_invl2
	buffer_wbinvl1_vol
	v_cmp_eq_u64_e32 vcc, v[4:5], v[22:23]
	s_or_b64 s[22:23], vcc, s[22:23]
	s_andn2_b64 exec, exec, s[22:23]
	s_cbranch_execnz .LBB3_146
; %bb.147:                              ;   in Loop: Header=BB3_3 Depth=1
	s_or_b64 exec, exec, s[22:23]
.LBB3_148:                              ;   in Loop: Header=BB3_3 Depth=1
	s_or_b64 exec, exec, s[20:21]
.LBB3_149:                              ;   in Loop: Header=BB3_3 Depth=1
	s_or_b64 exec, exec, s[6:7]
	global_load_dwordx2 v[8:9], v3, s[18:19] offset:40
	global_load_dwordx4 v[22:25], v3, s[18:19]
	v_readfirstlane_b32 s20, v4
	v_readfirstlane_b32 s21, v5
	s_mov_b64 s[6:7], exec
	s_waitcnt vmcnt(1)
	v_readfirstlane_b32 s22, v8
	v_readfirstlane_b32 s23, v9
	s_and_b64 s[22:23], s[20:21], s[22:23]
	s_mul_i32 s5, s23, 24
	s_mul_hi_u32 s24, s22, 24
	s_mul_i32 s25, s22, 24
	s_add_i32 s5, s24, s5
	v_mov_b32_e32 v1, s5
	s_waitcnt vmcnt(0)
	v_add_co_u32_e32 v8, vcc, s25, v22
	v_addc_co_u32_e32 v9, vcc, v23, v1, vcc
	s_and_saveexec_b64 s[24:25], s[0:1]
	s_cbranch_execz .LBB3_151
; %bb.150:                              ;   in Loop: Header=BB3_3 Depth=1
	v_pk_mov_b32 v[4:5], s[6:7], s[6:7] op_sel:[0,1]
	global_store_dwordx4 v[8:9], v[4:7], off offset:8
.LBB3_151:                              ;   in Loop: Header=BB3_3 Depth=1
	s_or_b64 exec, exec, s[24:25]
	s_lshl_b64 s[6:7], s[22:23], 12
	v_mov_b32_e32 v1, s7
	v_add_co_u32_e32 v4, vcc, s6, v24
	v_addc_co_u32_e32 v1, vcc, v25, v1, vcc
	v_and_or_b32 v18, v18, s9, 32
	v_mov_b32_e32 v20, v38
	v_mov_b32_e32 v21, v3
	v_readfirstlane_b32 s22, v4
	v_readfirstlane_b32 s23, v1
	s_mov_b32 s6, s4
	s_mov_b32 s7, s4
	;; [unrolled: 1-line block ×3, first 2 shown]
	s_nop 1
	global_store_dwordx4 v42, v[18:21], s[22:23]
	s_nop 0
	v_pk_mov_b32 v[18:19], s[6:7], s[6:7] op_sel:[0,1]
	v_pk_mov_b32 v[16:17], s[4:5], s[4:5] op_sel:[0,1]
	global_store_dwordx4 v42, v[16:19], s[22:23] offset:16
	global_store_dwordx4 v42, v[16:19], s[22:23] offset:32
	;; [unrolled: 1-line block ×3, first 2 shown]
	s_and_saveexec_b64 s[6:7], s[0:1]
	s_cbranch_execz .LBB3_159
; %bb.152:                              ;   in Loop: Header=BB3_3 Depth=1
	global_load_dwordx2 v[20:21], v3, s[18:19] offset:32 glc
	global_load_dwordx2 v[12:13], v3, s[18:19] offset:40
	v_mov_b32_e32 v18, s20
	v_mov_b32_e32 v19, s21
	s_waitcnt vmcnt(0)
	v_readfirstlane_b32 s22, v12
	v_readfirstlane_b32 s23, v13
	s_and_b64 s[22:23], s[22:23], s[20:21]
	s_mul_i32 s5, s23, 24
	s_mul_hi_u32 s23, s22, 24
	s_mul_i32 s22, s22, 24
	s_add_i32 s5, s23, s5
	v_mov_b32_e32 v2, s5
	v_add_co_u32_e32 v12, vcc, s22, v22
	v_addc_co_u32_e32 v13, vcc, v23, v2, vcc
	global_store_dwordx2 v[12:13], v[20:21], off
	buffer_wbl2
	s_waitcnt vmcnt(0)
	global_atomic_cmpswap_x2 v[18:19], v3, v[18:21], s[18:19] offset:32 glc
	s_waitcnt vmcnt(0)
	v_cmp_ne_u64_e32 vcc, v[18:19], v[20:21]
	s_and_saveexec_b64 s[22:23], vcc
	s_cbranch_execz .LBB3_155
; %bb.153:                              ;   in Loop: Header=BB3_3 Depth=1
	s_mov_b64 s[24:25], 0
.LBB3_154:                              ;   Parent Loop BB3_3 Depth=1
                                        ; =>  This Inner Loop Header: Depth=2
	s_sleep 1
	global_store_dwordx2 v[12:13], v[18:19], off
	v_mov_b32_e32 v16, s20
	v_mov_b32_e32 v17, s21
	buffer_wbl2
	s_waitcnt vmcnt(0)
	global_atomic_cmpswap_x2 v[16:17], v3, v[16:19], s[18:19] offset:32 glc
	s_waitcnt vmcnt(0)
	v_cmp_eq_u64_e32 vcc, v[16:17], v[18:19]
	s_or_b64 s[24:25], vcc, s[24:25]
	v_pk_mov_b32 v[18:19], v[16:17], v[16:17] op_sel:[0,1]
	s_andn2_b64 exec, exec, s[24:25]
	s_cbranch_execnz .LBB3_154
.LBB3_155:                              ;   in Loop: Header=BB3_3 Depth=1
	s_or_b64 exec, exec, s[22:23]
	global_load_dwordx2 v[12:13], v3, s[18:19] offset:16
	s_mov_b64 s[24:25], exec
	v_mbcnt_lo_u32_b32 v2, s24, 0
	v_mbcnt_hi_u32_b32 v2, s25, v2
	v_cmp_eq_u32_e32 vcc, 0, v2
	s_and_saveexec_b64 s[22:23], vcc
	s_cbranch_execz .LBB3_157
; %bb.156:                              ;   in Loop: Header=BB3_3 Depth=1
	s_bcnt1_i32_b64 s5, s[24:25]
	v_mov_b32_e32 v2, s5
	buffer_wbl2
	s_waitcnt vmcnt(0)
	global_atomic_add_x2 v[12:13], v[2:3], off offset:8
.LBB3_157:                              ;   in Loop: Header=BB3_3 Depth=1
	s_or_b64 exec, exec, s[22:23]
	s_waitcnt vmcnt(0)
	global_load_dwordx2 v[16:17], v[12:13], off offset:16
	s_waitcnt vmcnt(0)
	v_cmp_eq_u64_e32 vcc, 0, v[16:17]
	s_cbranch_vccnz .LBB3_159
; %bb.158:                              ;   in Loop: Header=BB3_3 Depth=1
	global_load_dword v2, v[12:13], off offset:24
	buffer_wbl2
	s_waitcnt vmcnt(0)
	global_store_dwordx2 v[16:17], v[2:3], off
	v_and_b32_e32 v2, 0xffffff, v2
	v_readfirstlane_b32 m0, v2
	s_sendmsg sendmsg(MSG_INTERRUPT)
.LBB3_159:                              ;   in Loop: Header=BB3_3 Depth=1
	s_or_b64 exec, exec, s[6:7]
	v_add_co_u32_e32 v4, vcc, v4, v42
	v_addc_co_u32_e32 v5, vcc, 0, v1, vcc
	s_branch .LBB3_163
.LBB3_160:                              ;   in Loop: Header=BB3_163 Depth=2
	s_or_b64 exec, exec, s[6:7]
	v_readfirstlane_b32 s5, v1
	s_cmp_eq_u32 s5, 0
	s_cbranch_scc1 .LBB3_162
; %bb.161:                              ;   in Loop: Header=BB3_163 Depth=2
	s_sleep 1
	s_cbranch_execnz .LBB3_163
	s_branch .LBB3_165
.LBB3_162:                              ;   in Loop: Header=BB3_3 Depth=1
	s_branch .LBB3_165
.LBB3_163:                              ;   Parent Loop BB3_3 Depth=1
                                        ; =>  This Inner Loop Header: Depth=2
	v_mov_b32_e32 v1, 1
	s_and_saveexec_b64 s[6:7], s[0:1]
	s_cbranch_execz .LBB3_160
; %bb.164:                              ;   in Loop: Header=BB3_163 Depth=2
	global_load_dword v1, v[8:9], off offset:20 glc
	s_waitcnt vmcnt(0)
	buffer_invl2
	buffer_wbinvl1_vol
	v_and_b32_e32 v1, 1, v1
	s_branch .LBB3_160
.LBB3_165:                              ;   in Loop: Header=BB3_3 Depth=1
	global_load_dwordx2 v[12:13], v[4:5], off
	s_and_saveexec_b64 s[6:7], s[0:1]
	s_cbranch_execz .LBB3_169
; %bb.166:                              ;   in Loop: Header=BB3_3 Depth=1
	global_load_dwordx2 v[4:5], v3, s[18:19] offset:40
	global_load_dwordx2 v[8:9], v3, s[18:19] offset:24 glc
	global_load_dwordx2 v[20:21], v3, s[18:19]
	v_mov_b32_e32 v1, s21
	s_waitcnt vmcnt(2)
	v_add_co_u32_e32 v2, vcc, 1, v4
	v_addc_co_u32_e32 v19, vcc, 0, v5, vcc
	v_add_co_u32_e32 v16, vcc, s20, v2
	v_addc_co_u32_e32 v17, vcc, v19, v1, vcc
	v_cmp_eq_u64_e32 vcc, 0, v[16:17]
	v_cndmask_b32_e32 v17, v17, v19, vcc
	v_cndmask_b32_e32 v16, v16, v2, vcc
	v_and_b32_e32 v1, v17, v5
	v_and_b32_e32 v2, v16, v4
	v_mul_lo_u32 v1, v1, 24
	v_mul_hi_u32 v4, v2, 24
	v_mul_lo_u32 v2, v2, 24
	v_add_u32_e32 v1, v4, v1
	s_waitcnt vmcnt(0)
	v_add_co_u32_e32 v4, vcc, v20, v2
	v_addc_co_u32_e32 v5, vcc, v21, v1, vcc
	v_mov_b32_e32 v18, v8
	global_store_dwordx2 v[4:5], v[8:9], off
	v_mov_b32_e32 v19, v9
	buffer_wbl2
	s_waitcnt vmcnt(0)
	global_atomic_cmpswap_x2 v[18:19], v3, v[16:19], s[18:19] offset:24 glc
	s_waitcnt vmcnt(0)
	v_cmp_ne_u64_e32 vcc, v[18:19], v[8:9]
	s_and_b64 exec, exec, vcc
	s_cbranch_execz .LBB3_169
; %bb.167:                              ;   in Loop: Header=BB3_3 Depth=1
	s_mov_b64 s[0:1], 0
.LBB3_168:                              ;   Parent Loop BB3_3 Depth=1
                                        ; =>  This Inner Loop Header: Depth=2
	s_sleep 1
	global_store_dwordx2 v[4:5], v[18:19], off
	buffer_wbl2
	s_waitcnt vmcnt(0)
	global_atomic_cmpswap_x2 v[8:9], v3, v[16:19], s[18:19] offset:24 glc
	s_waitcnt vmcnt(0)
	v_cmp_eq_u64_e32 vcc, v[8:9], v[18:19]
	s_or_b64 s[0:1], vcc, s[0:1]
	v_pk_mov_b32 v[18:19], v[8:9], v[8:9] op_sel:[0,1]
	s_andn2_b64 exec, exec, s[0:1]
	s_cbranch_execnz .LBB3_168
.LBB3_169:                              ;   in Loop: Header=BB3_3 Depth=1
	s_or_b64 exec, exec, s[6:7]
	v_readfirstlane_b32 s0, v41
	v_cmp_eq_u32_e64 s[0:1], s0, v41
	v_pk_mov_b32 v[4:5], 0, 0
	s_and_saveexec_b64 s[6:7], s[0:1]
	s_cbranch_execz .LBB3_175
; %bb.170:                              ;   in Loop: Header=BB3_3 Depth=1
	global_load_dwordx2 v[18:19], v3, s[18:19] offset:24 glc
	s_waitcnt vmcnt(0)
	buffer_invl2
	buffer_wbinvl1_vol
	global_load_dwordx2 v[4:5], v3, s[18:19] offset:40
	global_load_dwordx2 v[8:9], v3, s[18:19]
	s_waitcnt vmcnt(1)
	v_and_b32_e32 v1, v4, v18
	v_and_b32_e32 v2, v5, v19
	v_mul_lo_u32 v2, v2, 24
	v_mul_hi_u32 v4, v1, 24
	v_mul_lo_u32 v1, v1, 24
	v_add_u32_e32 v2, v4, v2
	s_waitcnt vmcnt(0)
	v_add_co_u32_e32 v4, vcc, v8, v1
	v_addc_co_u32_e32 v5, vcc, v9, v2, vcc
	global_load_dwordx2 v[16:17], v[4:5], off glc
	s_waitcnt vmcnt(0)
	global_atomic_cmpswap_x2 v[4:5], v3, v[16:19], s[18:19] offset:24 glc
	s_waitcnt vmcnt(0)
	buffer_invl2
	buffer_wbinvl1_vol
	v_cmp_ne_u64_e32 vcc, v[4:5], v[18:19]
	s_and_saveexec_b64 s[20:21], vcc
	s_cbranch_execz .LBB3_174
; %bb.171:                              ;   in Loop: Header=BB3_3 Depth=1
	s_mov_b64 s[22:23], 0
.LBB3_172:                              ;   Parent Loop BB3_3 Depth=1
                                        ; =>  This Inner Loop Header: Depth=2
	s_sleep 1
	global_load_dwordx2 v[8:9], v3, s[18:19] offset:40
	global_load_dwordx2 v[16:17], v3, s[18:19]
	v_pk_mov_b32 v[18:19], v[4:5], v[4:5] op_sel:[0,1]
	s_waitcnt vmcnt(1)
	v_and_b32_e32 v2, v8, v18
	s_waitcnt vmcnt(0)
	v_mad_u64_u32 v[4:5], s[24:25], v2, 24, v[16:17]
	v_and_b32_e32 v1, v9, v19
	v_mov_b32_e32 v2, v5
	v_mad_u64_u32 v[8:9], s[24:25], v1, 24, v[2:3]
	v_mov_b32_e32 v5, v8
	global_load_dwordx2 v[16:17], v[4:5], off glc
	s_waitcnt vmcnt(0)
	global_atomic_cmpswap_x2 v[4:5], v3, v[16:19], s[18:19] offset:24 glc
	s_waitcnt vmcnt(0)
	buffer_invl2
	buffer_wbinvl1_vol
	v_cmp_eq_u64_e32 vcc, v[4:5], v[18:19]
	s_or_b64 s[22:23], vcc, s[22:23]
	s_andn2_b64 exec, exec, s[22:23]
	s_cbranch_execnz .LBB3_172
; %bb.173:                              ;   in Loop: Header=BB3_3 Depth=1
	s_or_b64 exec, exec, s[22:23]
.LBB3_174:                              ;   in Loop: Header=BB3_3 Depth=1
	s_or_b64 exec, exec, s[20:21]
.LBB3_175:                              ;   in Loop: Header=BB3_3 Depth=1
	s_or_b64 exec, exec, s[6:7]
	global_load_dwordx2 v[8:9], v3, s[18:19] offset:40
	global_load_dwordx4 v[16:19], v3, s[18:19]
	v_readfirstlane_b32 s20, v4
	v_readfirstlane_b32 s21, v5
	s_mov_b64 s[6:7], exec
	s_waitcnt vmcnt(1)
	v_readfirstlane_b32 s22, v8
	v_readfirstlane_b32 s23, v9
	s_and_b64 s[22:23], s[20:21], s[22:23]
	s_mul_i32 s5, s23, 24
	s_mul_hi_u32 s24, s22, 24
	s_mul_i32 s25, s22, 24
	s_add_i32 s5, s24, s5
	v_mov_b32_e32 v1, s5
	s_waitcnt vmcnt(0)
	v_add_co_u32_e32 v8, vcc, s25, v16
	v_addc_co_u32_e32 v9, vcc, v17, v1, vcc
	s_and_saveexec_b64 s[24:25], s[0:1]
	s_cbranch_execz .LBB3_177
; %bb.176:                              ;   in Loop: Header=BB3_3 Depth=1
	v_pk_mov_b32 v[4:5], s[6:7], s[6:7] op_sel:[0,1]
	global_store_dwordx4 v[8:9], v[4:7], off offset:8
.LBB3_177:                              ;   in Loop: Header=BB3_3 Depth=1
	s_or_b64 exec, exec, s[24:25]
	s_lshl_b64 s[6:7], s[22:23], 12
	v_mov_b32_e32 v1, s7
	v_add_co_u32_e32 v4, vcc, s6, v18
	v_addc_co_u32_e32 v1, vcc, v19, v1, vcc
	v_and_or_b32 v12, v12, s9, 32
	v_readfirstlane_b32 s22, v4
	v_readfirstlane_b32 s23, v1
	s_mov_b32 s6, s4
	s_mov_b32 s7, s4
	;; [unrolled: 1-line block ×3, first 2 shown]
	s_nop 1
	global_store_dwordx4 v42, v[12:15], s[22:23]
	s_nop 0
	v_pk_mov_b32 v[14:15], s[6:7], s[6:7] op_sel:[0,1]
	v_pk_mov_b32 v[12:13], s[4:5], s[4:5] op_sel:[0,1]
	global_store_dwordx4 v42, v[12:15], s[22:23] offset:16
	global_store_dwordx4 v42, v[12:15], s[22:23] offset:32
	;; [unrolled: 1-line block ×3, first 2 shown]
	s_and_saveexec_b64 s[6:7], s[0:1]
	s_cbranch_execz .LBB3_185
; %bb.178:                              ;   in Loop: Header=BB3_3 Depth=1
	global_load_dwordx2 v[20:21], v3, s[18:19] offset:32 glc
	global_load_dwordx2 v[12:13], v3, s[18:19] offset:40
	v_mov_b32_e32 v18, s20
	v_mov_b32_e32 v19, s21
	s_waitcnt vmcnt(0)
	v_readfirstlane_b32 s22, v12
	v_readfirstlane_b32 s23, v13
	s_and_b64 s[22:23], s[22:23], s[20:21]
	s_mul_i32 s5, s23, 24
	s_mul_hi_u32 s23, s22, 24
	s_mul_i32 s22, s22, 24
	s_add_i32 s5, s23, s5
	v_mov_b32_e32 v2, s5
	v_add_co_u32_e32 v16, vcc, s22, v16
	v_addc_co_u32_e32 v17, vcc, v17, v2, vcc
	global_store_dwordx2 v[16:17], v[20:21], off
	buffer_wbl2
	s_waitcnt vmcnt(0)
	global_atomic_cmpswap_x2 v[14:15], v3, v[18:21], s[18:19] offset:32 glc
	s_waitcnt vmcnt(0)
	v_cmp_ne_u64_e32 vcc, v[14:15], v[20:21]
	s_and_saveexec_b64 s[22:23], vcc
	s_cbranch_execz .LBB3_181
; %bb.179:                              ;   in Loop: Header=BB3_3 Depth=1
	s_mov_b64 s[24:25], 0
.LBB3_180:                              ;   Parent Loop BB3_3 Depth=1
                                        ; =>  This Inner Loop Header: Depth=2
	s_sleep 1
	global_store_dwordx2 v[16:17], v[14:15], off
	v_mov_b32_e32 v12, s20
	v_mov_b32_e32 v13, s21
	buffer_wbl2
	s_waitcnt vmcnt(0)
	global_atomic_cmpswap_x2 v[12:13], v3, v[12:15], s[18:19] offset:32 glc
	s_waitcnt vmcnt(0)
	v_cmp_eq_u64_e32 vcc, v[12:13], v[14:15]
	s_or_b64 s[24:25], vcc, s[24:25]
	v_pk_mov_b32 v[14:15], v[12:13], v[12:13] op_sel:[0,1]
	s_andn2_b64 exec, exec, s[24:25]
	s_cbranch_execnz .LBB3_180
.LBB3_181:                              ;   in Loop: Header=BB3_3 Depth=1
	s_or_b64 exec, exec, s[22:23]
	global_load_dwordx2 v[12:13], v3, s[18:19] offset:16
	s_mov_b64 s[24:25], exec
	v_mbcnt_lo_u32_b32 v2, s24, 0
	v_mbcnt_hi_u32_b32 v2, s25, v2
	v_cmp_eq_u32_e32 vcc, 0, v2
	s_and_saveexec_b64 s[22:23], vcc
	s_cbranch_execz .LBB3_183
; %bb.182:                              ;   in Loop: Header=BB3_3 Depth=1
	s_bcnt1_i32_b64 s5, s[24:25]
	v_mov_b32_e32 v2, s5
	buffer_wbl2
	s_waitcnt vmcnt(0)
	global_atomic_add_x2 v[12:13], v[2:3], off offset:8
.LBB3_183:                              ;   in Loop: Header=BB3_3 Depth=1
	s_or_b64 exec, exec, s[22:23]
	s_waitcnt vmcnt(0)
	global_load_dwordx2 v[14:15], v[12:13], off offset:16
	s_waitcnt vmcnt(0)
	v_cmp_eq_u64_e32 vcc, 0, v[14:15]
	s_cbranch_vccnz .LBB3_185
; %bb.184:                              ;   in Loop: Header=BB3_3 Depth=1
	global_load_dword v2, v[12:13], off offset:24
	buffer_wbl2
	s_waitcnt vmcnt(0)
	global_store_dwordx2 v[14:15], v[2:3], off
	v_and_b32_e32 v2, 0xffffff, v2
	v_readfirstlane_b32 m0, v2
	s_sendmsg sendmsg(MSG_INTERRUPT)
.LBB3_185:                              ;   in Loop: Header=BB3_3 Depth=1
	s_or_b64 exec, exec, s[6:7]
	v_add_co_u32_e32 v4, vcc, v4, v42
	v_addc_co_u32_e32 v5, vcc, 0, v1, vcc
	s_branch .LBB3_189
.LBB3_186:                              ;   in Loop: Header=BB3_189 Depth=2
	s_or_b64 exec, exec, s[6:7]
	v_readfirstlane_b32 s5, v1
	s_cmp_eq_u32 s5, 0
	s_cbranch_scc1 .LBB3_188
; %bb.187:                              ;   in Loop: Header=BB3_189 Depth=2
	s_sleep 1
	s_cbranch_execnz .LBB3_189
	s_branch .LBB3_191
.LBB3_188:                              ;   in Loop: Header=BB3_3 Depth=1
	s_branch .LBB3_191
.LBB3_189:                              ;   Parent Loop BB3_3 Depth=1
                                        ; =>  This Inner Loop Header: Depth=2
	v_mov_b32_e32 v1, 1
	s_and_saveexec_b64 s[6:7], s[0:1]
	s_cbranch_execz .LBB3_186
; %bb.190:                              ;   in Loop: Header=BB3_189 Depth=2
	global_load_dword v1, v[8:9], off offset:20 glc
	s_waitcnt vmcnt(0)
	buffer_invl2
	buffer_wbinvl1_vol
	v_and_b32_e32 v1, 1, v1
	s_branch .LBB3_186
.LBB3_191:                              ;   in Loop: Header=BB3_3 Depth=1
	global_load_dwordx2 v[8:9], v[4:5], off
	s_and_saveexec_b64 s[6:7], s[0:1]
	s_cbranch_execz .LBB3_195
; %bb.192:                              ;   in Loop: Header=BB3_3 Depth=1
	global_load_dwordx2 v[4:5], v3, s[18:19] offset:40
	global_load_dwordx2 v[16:17], v3, s[18:19] offset:24 glc
	global_load_dwordx2 v[18:19], v3, s[18:19]
	v_mov_b32_e32 v1, s21
	s_waitcnt vmcnt(2)
	v_add_co_u32_e32 v2, vcc, 1, v4
	v_addc_co_u32_e32 v15, vcc, 0, v5, vcc
	v_add_co_u32_e32 v12, vcc, s20, v2
	v_addc_co_u32_e32 v13, vcc, v15, v1, vcc
	v_cmp_eq_u64_e32 vcc, 0, v[12:13]
	v_cndmask_b32_e32 v13, v13, v15, vcc
	v_cndmask_b32_e32 v12, v12, v2, vcc
	v_and_b32_e32 v1, v13, v5
	v_and_b32_e32 v2, v12, v4
	v_mul_lo_u32 v1, v1, 24
	v_mul_hi_u32 v4, v2, 24
	v_mul_lo_u32 v2, v2, 24
	v_add_u32_e32 v1, v4, v1
	s_waitcnt vmcnt(0)
	v_add_co_u32_e32 v4, vcc, v18, v2
	v_addc_co_u32_e32 v5, vcc, v19, v1, vcc
	v_mov_b32_e32 v14, v16
	global_store_dwordx2 v[4:5], v[16:17], off
	v_mov_b32_e32 v15, v17
	buffer_wbl2
	s_waitcnt vmcnt(0)
	global_atomic_cmpswap_x2 v[14:15], v3, v[12:15], s[18:19] offset:24 glc
	s_waitcnt vmcnt(0)
	v_cmp_ne_u64_e32 vcc, v[14:15], v[16:17]
	s_and_b64 exec, exec, vcc
	s_cbranch_execz .LBB3_195
; %bb.193:                              ;   in Loop: Header=BB3_3 Depth=1
	s_mov_b64 s[0:1], 0
.LBB3_194:                              ;   Parent Loop BB3_3 Depth=1
                                        ; =>  This Inner Loop Header: Depth=2
	s_sleep 1
	global_store_dwordx2 v[4:5], v[14:15], off
	buffer_wbl2
	s_waitcnt vmcnt(0)
	global_atomic_cmpswap_x2 v[16:17], v3, v[12:15], s[18:19] offset:24 glc
	s_waitcnt vmcnt(0)
	v_cmp_eq_u64_e32 vcc, v[16:17], v[14:15]
	s_or_b64 s[0:1], vcc, s[0:1]
	v_pk_mov_b32 v[14:15], v[16:17], v[16:17] op_sel:[0,1]
	s_andn2_b64 exec, exec, s[0:1]
	s_cbranch_execnz .LBB3_194
.LBB3_195:                              ;   in Loop: Header=BB3_3 Depth=1
	s_or_b64 exec, exec, s[6:7]
	v_readfirstlane_b32 s0, v41
	v_cmp_eq_u32_e64 s[0:1], s0, v41
	v_pk_mov_b32 v[4:5], 0, 0
	s_and_saveexec_b64 s[6:7], s[0:1]
	s_cbranch_execz .LBB3_201
; %bb.196:                              ;   in Loop: Header=BB3_3 Depth=1
	global_load_dwordx2 v[14:15], v3, s[18:19] offset:24 glc
	s_waitcnt vmcnt(0)
	buffer_invl2
	buffer_wbinvl1_vol
	global_load_dwordx2 v[4:5], v3, s[18:19] offset:40
	global_load_dwordx2 v[12:13], v3, s[18:19]
	s_waitcnt vmcnt(1)
	v_and_b32_e32 v1, v4, v14
	v_and_b32_e32 v2, v5, v15
	v_mul_lo_u32 v2, v2, 24
	v_mul_hi_u32 v4, v1, 24
	v_mul_lo_u32 v1, v1, 24
	v_add_u32_e32 v2, v4, v2
	s_waitcnt vmcnt(0)
	v_add_co_u32_e32 v4, vcc, v12, v1
	v_addc_co_u32_e32 v5, vcc, v13, v2, vcc
	global_load_dwordx2 v[12:13], v[4:5], off glc
	s_waitcnt vmcnt(0)
	global_atomic_cmpswap_x2 v[4:5], v3, v[12:15], s[18:19] offset:24 glc
	s_waitcnt vmcnt(0)
	buffer_invl2
	buffer_wbinvl1_vol
	v_cmp_ne_u64_e32 vcc, v[4:5], v[14:15]
	s_and_saveexec_b64 s[20:21], vcc
	s_cbranch_execz .LBB3_200
; %bb.197:                              ;   in Loop: Header=BB3_3 Depth=1
	s_mov_b64 s[22:23], 0
.LBB3_198:                              ;   Parent Loop BB3_3 Depth=1
                                        ; =>  This Inner Loop Header: Depth=2
	s_sleep 1
	global_load_dwordx2 v[12:13], v3, s[18:19] offset:40
	global_load_dwordx2 v[16:17], v3, s[18:19]
	v_pk_mov_b32 v[14:15], v[4:5], v[4:5] op_sel:[0,1]
	s_waitcnt vmcnt(1)
	v_and_b32_e32 v2, v12, v14
	s_waitcnt vmcnt(0)
	v_mad_u64_u32 v[4:5], s[24:25], v2, 24, v[16:17]
	v_and_b32_e32 v1, v13, v15
	v_mov_b32_e32 v2, v5
	v_mad_u64_u32 v[12:13], s[24:25], v1, 24, v[2:3]
	v_mov_b32_e32 v5, v12
	global_load_dwordx2 v[12:13], v[4:5], off glc
	s_waitcnt vmcnt(0)
	global_atomic_cmpswap_x2 v[4:5], v3, v[12:15], s[18:19] offset:24 glc
	s_waitcnt vmcnt(0)
	buffer_invl2
	buffer_wbinvl1_vol
	v_cmp_eq_u64_e32 vcc, v[4:5], v[14:15]
	s_or_b64 s[22:23], vcc, s[22:23]
	s_andn2_b64 exec, exec, s[22:23]
	s_cbranch_execnz .LBB3_198
; %bb.199:                              ;   in Loop: Header=BB3_3 Depth=1
	s_or_b64 exec, exec, s[22:23]
.LBB3_200:                              ;   in Loop: Header=BB3_3 Depth=1
	s_or_b64 exec, exec, s[20:21]
.LBB3_201:                              ;   in Loop: Header=BB3_3 Depth=1
	s_or_b64 exec, exec, s[6:7]
	global_load_dwordx2 v[16:17], v3, s[18:19] offset:40
	global_load_dwordx4 v[12:15], v3, s[18:19]
	v_readfirstlane_b32 s20, v4
	v_readfirstlane_b32 s21, v5
	s_mov_b64 s[6:7], exec
	s_waitcnt vmcnt(1)
	v_readfirstlane_b32 s22, v16
	v_readfirstlane_b32 s23, v17
	s_and_b64 s[22:23], s[20:21], s[22:23]
	s_mul_i32 s5, s23, 24
	s_mul_hi_u32 s24, s22, 24
	s_mul_i32 s25, s22, 24
	s_add_i32 s5, s24, s5
	v_mov_b32_e32 v1, s5
	s_waitcnt vmcnt(0)
	v_add_co_u32_e32 v16, vcc, s25, v12
	v_addc_co_u32_e32 v17, vcc, v13, v1, vcc
	s_and_saveexec_b64 s[24:25], s[0:1]
	s_cbranch_execz .LBB3_203
; %bb.202:                              ;   in Loop: Header=BB3_3 Depth=1
	v_pk_mov_b32 v[4:5], s[6:7], s[6:7] op_sel:[0,1]
	global_store_dwordx4 v[16:17], v[4:7], off offset:8
.LBB3_203:                              ;   in Loop: Header=BB3_3 Depth=1
	s_or_b64 exec, exec, s[24:25]
	s_lshl_b64 s[6:7], s[22:23], 12
	v_mov_b32_e32 v1, s7
	v_add_co_u32_e32 v2, vcc, s6, v14
	v_addc_co_u32_e32 v1, vcc, v15, v1, vcc
	v_and_or_b32 v8, v8, s35, 34
	v_readfirstlane_b32 s22, v2
	v_readfirstlane_b32 s23, v1
	s_mov_b32 s6, s4
	s_mov_b32 s7, s4
	s_mov_b32 s5, s4
	s_nop 1
	global_store_dwordx4 v42, v[8:11], s[22:23]
	s_nop 0
	v_pk_mov_b32 v[10:11], s[6:7], s[6:7] op_sel:[0,1]
	v_pk_mov_b32 v[8:9], s[4:5], s[4:5] op_sel:[0,1]
	global_store_dwordx4 v42, v[8:11], s[22:23] offset:16
	global_store_dwordx4 v42, v[8:11], s[22:23] offset:32
	;; [unrolled: 1-line block ×3, first 2 shown]
	s_and_saveexec_b64 s[6:7], s[0:1]
	s_cbranch_execz .LBB3_211
; %bb.204:                              ;   in Loop: Header=BB3_3 Depth=1
	global_load_dwordx2 v[20:21], v3, s[18:19] offset:32 glc
	global_load_dwordx2 v[4:5], v3, s[18:19] offset:40
	v_mov_b32_e32 v18, s20
	v_mov_b32_e32 v19, s21
	s_waitcnt vmcnt(0)
	v_readfirstlane_b32 s22, v4
	v_readfirstlane_b32 s23, v5
	s_and_b64 s[22:23], s[22:23], s[20:21]
	s_mul_i32 s5, s23, 24
	s_mul_hi_u32 s23, s22, 24
	s_mul_i32 s22, s22, 24
	s_add_i32 s5, s23, s5
	v_mov_b32_e32 v1, s5
	v_add_co_u32_e32 v4, vcc, s22, v12
	v_addc_co_u32_e32 v5, vcc, v13, v1, vcc
	global_store_dwordx2 v[4:5], v[20:21], off
	buffer_wbl2
	s_waitcnt vmcnt(0)
	global_atomic_cmpswap_x2 v[10:11], v3, v[18:21], s[18:19] offset:32 glc
	s_waitcnt vmcnt(0)
	v_cmp_ne_u64_e32 vcc, v[10:11], v[20:21]
	s_and_saveexec_b64 s[22:23], vcc
	s_cbranch_execz .LBB3_207
; %bb.205:                              ;   in Loop: Header=BB3_3 Depth=1
	s_mov_b64 s[24:25], 0
.LBB3_206:                              ;   Parent Loop BB3_3 Depth=1
                                        ; =>  This Inner Loop Header: Depth=2
	s_sleep 1
	global_store_dwordx2 v[4:5], v[10:11], off
	v_mov_b32_e32 v8, s20
	v_mov_b32_e32 v9, s21
	buffer_wbl2
	s_waitcnt vmcnt(0)
	global_atomic_cmpswap_x2 v[8:9], v3, v[8:11], s[18:19] offset:32 glc
	s_waitcnt vmcnt(0)
	v_cmp_eq_u64_e32 vcc, v[8:9], v[10:11]
	s_or_b64 s[24:25], vcc, s[24:25]
	v_pk_mov_b32 v[10:11], v[8:9], v[8:9] op_sel:[0,1]
	s_andn2_b64 exec, exec, s[24:25]
	s_cbranch_execnz .LBB3_206
.LBB3_207:                              ;   in Loop: Header=BB3_3 Depth=1
	s_or_b64 exec, exec, s[22:23]
	global_load_dwordx2 v[4:5], v3, s[18:19] offset:16
	s_mov_b64 s[24:25], exec
	v_mbcnt_lo_u32_b32 v1, s24, 0
	v_mbcnt_hi_u32_b32 v1, s25, v1
	v_cmp_eq_u32_e32 vcc, 0, v1
	s_and_saveexec_b64 s[22:23], vcc
	s_cbranch_execz .LBB3_209
; %bb.208:                              ;   in Loop: Header=BB3_3 Depth=1
	s_bcnt1_i32_b64 s5, s[24:25]
	v_mov_b32_e32 v2, s5
	buffer_wbl2
	s_waitcnt vmcnt(0)
	global_atomic_add_x2 v[4:5], v[2:3], off offset:8
.LBB3_209:                              ;   in Loop: Header=BB3_3 Depth=1
	s_or_b64 exec, exec, s[22:23]
	s_waitcnt vmcnt(0)
	global_load_dwordx2 v[8:9], v[4:5], off offset:16
	s_waitcnt vmcnt(0)
	v_cmp_eq_u64_e32 vcc, 0, v[8:9]
	s_cbranch_vccnz .LBB3_211
; %bb.210:                              ;   in Loop: Header=BB3_3 Depth=1
	global_load_dword v2, v[4:5], off offset:24
	s_waitcnt vmcnt(0)
	v_and_b32_e32 v1, 0xffffff, v2
	v_readfirstlane_b32 m0, v1
	buffer_wbl2
	global_store_dwordx2 v[8:9], v[2:3], off
	s_sendmsg sendmsg(MSG_INTERRUPT)
.LBB3_211:                              ;   in Loop: Header=BB3_3 Depth=1
	s_or_b64 exec, exec, s[6:7]
	s_branch .LBB3_215
.LBB3_212:                              ;   in Loop: Header=BB3_215 Depth=2
	s_or_b64 exec, exec, s[6:7]
	v_readfirstlane_b32 s5, v1
	s_cmp_eq_u32 s5, 0
	s_cbranch_scc1 .LBB3_214
; %bb.213:                              ;   in Loop: Header=BB3_215 Depth=2
	s_sleep 1
	s_cbranch_execnz .LBB3_215
	s_branch .LBB3_217
.LBB3_214:                              ;   in Loop: Header=BB3_3 Depth=1
	s_branch .LBB3_217
.LBB3_215:                              ;   Parent Loop BB3_3 Depth=1
                                        ; =>  This Inner Loop Header: Depth=2
	v_mov_b32_e32 v1, 1
	s_and_saveexec_b64 s[6:7], s[0:1]
	s_cbranch_execz .LBB3_212
; %bb.216:                              ;   in Loop: Header=BB3_215 Depth=2
	global_load_dword v1, v[16:17], off offset:20 glc
	s_waitcnt vmcnt(0)
	buffer_invl2
	buffer_wbinvl1_vol
	v_and_b32_e32 v1, 1, v1
	s_branch .LBB3_212
.LBB3_217:                              ;   in Loop: Header=BB3_3 Depth=1
	s_and_b64 exec, exec, s[0:1]
	s_cbranch_execz .LBB3_2
; %bb.218:                              ;   in Loop: Header=BB3_3 Depth=1
	global_load_dwordx2 v[4:5], v3, s[18:19] offset:40
	global_load_dwordx2 v[12:13], v3, s[18:19] offset:24 glc
	global_load_dwordx2 v[14:15], v3, s[18:19]
	v_mov_b32_e32 v1, s21
	s_waitcnt vmcnt(2)
	v_add_co_u32_e32 v2, vcc, 1, v4
	v_addc_co_u32_e32 v11, vcc, 0, v5, vcc
	v_add_co_u32_e32 v8, vcc, s20, v2
	v_addc_co_u32_e32 v9, vcc, v11, v1, vcc
	v_cmp_eq_u64_e32 vcc, 0, v[8:9]
	v_cndmask_b32_e32 v9, v9, v11, vcc
	v_cndmask_b32_e32 v8, v8, v2, vcc
	v_and_b32_e32 v1, v9, v5
	v_and_b32_e32 v2, v8, v4
	v_mul_lo_u32 v1, v1, 24
	v_mul_hi_u32 v4, v2, 24
	v_mul_lo_u32 v2, v2, 24
	v_add_u32_e32 v1, v4, v1
	s_waitcnt vmcnt(0)
	v_add_co_u32_e32 v4, vcc, v14, v2
	v_addc_co_u32_e32 v5, vcc, v15, v1, vcc
	v_mov_b32_e32 v10, v12
	global_store_dwordx2 v[4:5], v[12:13], off
	v_mov_b32_e32 v11, v13
	buffer_wbl2
	s_waitcnt vmcnt(0)
	global_atomic_cmpswap_x2 v[10:11], v3, v[8:11], s[18:19] offset:24 glc
	s_waitcnt vmcnt(0)
	v_cmp_ne_u64_e32 vcc, v[10:11], v[12:13]
	s_and_b64 exec, exec, vcc
	s_cbranch_execz .LBB3_2
; %bb.219:                              ;   in Loop: Header=BB3_3 Depth=1
	s_mov_b64 s[0:1], 0
.LBB3_220:                              ;   Parent Loop BB3_3 Depth=1
                                        ; =>  This Inner Loop Header: Depth=2
	s_sleep 1
	global_store_dwordx2 v[4:5], v[10:11], off
	buffer_wbl2
	s_waitcnt vmcnt(0)
	global_atomic_cmpswap_x2 v[12:13], v3, v[8:11], s[18:19] offset:24 glc
	s_waitcnt vmcnt(0)
	v_cmp_eq_u64_e32 vcc, v[12:13], v[10:11]
	s_or_b64 s[0:1], vcc, s[0:1]
	v_pk_mov_b32 v[10:11], v[12:13], v[12:13] op_sel:[0,1]
	s_andn2_b64 exec, exec, s[0:1]
	s_cbranch_execnz .LBB3_220
	s_branch .LBB3_2
.LBB3_221:
	s_endpgm
	.section	.rodata,"a",@progbits
	.p2align	6, 0x0
	.amdhsa_kernel _Z10vec_verifyIdEvPT_S0_i
		.amdhsa_group_segment_fixed_size 0
		.amdhsa_private_segment_fixed_size 0
		.amdhsa_kernarg_size 280
		.amdhsa_user_sgpr_count 6
		.amdhsa_user_sgpr_private_segment_buffer 1
		.amdhsa_user_sgpr_dispatch_ptr 0
		.amdhsa_user_sgpr_queue_ptr 0
		.amdhsa_user_sgpr_kernarg_segment_ptr 1
		.amdhsa_user_sgpr_dispatch_id 0
		.amdhsa_user_sgpr_flat_scratch_init 0
		.amdhsa_user_sgpr_kernarg_preload_length 0
		.amdhsa_user_sgpr_kernarg_preload_offset 0
		.amdhsa_user_sgpr_private_segment_size 0
		.amdhsa_uses_dynamic_stack 0
		.amdhsa_system_sgpr_private_segment_wavefront_offset 0
		.amdhsa_system_sgpr_workgroup_id_x 1
		.amdhsa_system_sgpr_workgroup_id_y 0
		.amdhsa_system_sgpr_workgroup_id_z 0
		.amdhsa_system_sgpr_workgroup_info 0
		.amdhsa_system_vgpr_workitem_id 0
		.amdhsa_next_free_vgpr 43
		.amdhsa_next_free_sgpr 36
		.amdhsa_accum_offset 44
		.amdhsa_reserve_vcc 1
		.amdhsa_reserve_flat_scratch 0
		.amdhsa_float_round_mode_32 0
		.amdhsa_float_round_mode_16_64 0
		.amdhsa_float_denorm_mode_32 3
		.amdhsa_float_denorm_mode_16_64 3
		.amdhsa_dx10_clamp 1
		.amdhsa_ieee_mode 1
		.amdhsa_fp16_overflow 0
		.amdhsa_tg_split 0
		.amdhsa_exception_fp_ieee_invalid_op 0
		.amdhsa_exception_fp_denorm_src 0
		.amdhsa_exception_fp_ieee_div_zero 0
		.amdhsa_exception_fp_ieee_overflow 0
		.amdhsa_exception_fp_ieee_underflow 0
		.amdhsa_exception_fp_ieee_inexact 0
		.amdhsa_exception_int_div_zero 0
	.end_amdhsa_kernel
	.section	.text._Z10vec_verifyIdEvPT_S0_i,"axG",@progbits,_Z10vec_verifyIdEvPT_S0_i,comdat
.Lfunc_end3:
	.size	_Z10vec_verifyIdEvPT_S0_i, .Lfunc_end3-_Z10vec_verifyIdEvPT_S0_i
                                        ; -- End function
	.section	.AMDGPU.csdata,"",@progbits
; Kernel info:
; codeLenInByte = 8572
; NumSgprs: 40
; NumVgprs: 43
; NumAgprs: 0
; TotalNumVgprs: 43
; ScratchSize: 0
; MemoryBound: 0
; FloatMode: 240
; IeeeMode: 1
; LDSByteSize: 0 bytes/workgroup (compile time only)
; SGPRBlocks: 4
; VGPRBlocks: 5
; NumSGPRsForWavesPerEU: 40
; NumVGPRsForWavesPerEU: 43
; AccumOffset: 44
; Occupancy: 8
; WaveLimiterHint : 1
; COMPUTE_PGM_RSRC2:SCRATCH_EN: 0
; COMPUTE_PGM_RSRC2:USER_SGPR: 6
; COMPUTE_PGM_RSRC2:TRAP_HANDLER: 0
; COMPUTE_PGM_RSRC2:TGID_X_EN: 1
; COMPUTE_PGM_RSRC2:TGID_Y_EN: 0
; COMPUTE_PGM_RSRC2:TGID_Z_EN: 0
; COMPUTE_PGM_RSRC2:TIDIG_COMP_CNT: 0
; COMPUTE_PGM_RSRC3_GFX90A:ACCUM_OFFSET: 10
; COMPUTE_PGM_RSRC3_GFX90A:TG_SPLIT: 0
	.text
	.p2alignl 6, 3212836864
	.fill 256, 4, 3212836864
	.type	.str,@object                    ; @.str
	.section	.rodata.str1.1,"aMS",@progbits,1
.str:
	.asciz	"failed at %d: val=%g, expected=%g\n"
	.size	.str, 35

	.type	.str.1,@object                  ; @.str.1
.str.1:
	.asciz	"failed at %d: val=%d, expected=%d\n"
	.size	.str.1, 35

	.type	__hip_cuid_fa5056b01339f5b9,@object ; @__hip_cuid_fa5056b01339f5b9
	.section	.bss,"aw",@nobits
	.globl	__hip_cuid_fa5056b01339f5b9
__hip_cuid_fa5056b01339f5b9:
	.byte	0                               ; 0x0
	.size	__hip_cuid_fa5056b01339f5b9, 1

	.ident	"AMD clang version 19.0.0git (https://github.com/RadeonOpenCompute/llvm-project roc-6.4.0 25133 c7fe45cf4b819c5991fe208aaa96edf142730f1d)"
	.section	".note.GNU-stack","",@progbits
	.addrsig
	.addrsig_sym __hip_cuid_fa5056b01339f5b9
	.amdgpu_metadata
---
amdhsa.kernels:
  - .agpr_count:     0
    .args:
      - .address_space:  global
        .offset:         0
        .size:           8
        .value_kind:     global_buffer
      - .offset:         8
        .size:           4
        .value_kind:     by_value
      - .offset:         12
        .size:           4
        .value_kind:     by_value
      - .offset:         16
        .size:           4
        .value_kind:     hidden_block_count_x
      - .offset:         20
        .size:           4
        .value_kind:     hidden_block_count_y
      - .offset:         24
        .size:           4
        .value_kind:     hidden_block_count_z
      - .offset:         28
        .size:           2
        .value_kind:     hidden_group_size_x
      - .offset:         30
        .size:           2
        .value_kind:     hidden_group_size_y
      - .offset:         32
        .size:           2
        .value_kind:     hidden_group_size_z
      - .offset:         34
        .size:           2
        .value_kind:     hidden_remainder_x
      - .offset:         36
        .size:           2
        .value_kind:     hidden_remainder_y
      - .offset:         38
        .size:           2
        .value_kind:     hidden_remainder_z
      - .offset:         56
        .size:           8
        .value_kind:     hidden_global_offset_x
      - .offset:         64
        .size:           8
        .value_kind:     hidden_global_offset_y
      - .offset:         72
        .size:           8
        .value_kind:     hidden_global_offset_z
      - .offset:         80
        .size:           2
        .value_kind:     hidden_grid_dims
    .group_segment_fixed_size: 0
    .kernarg_segment_align: 8
    .kernarg_segment_size: 272
    .language:       OpenCL C
    .language_version:
      - 2
      - 0
    .max_flat_workgroup_size: 1024
    .name:           _Z8vec_fillIiEvPT_S0_i
    .private_segment_fixed_size: 0
    .sgpr_count:     21
    .sgpr_spill_count: 0
    .symbol:         _Z8vec_fillIiEvPT_S0_i.kd
    .uniform_work_group_size: 1
    .uses_dynamic_stack: false
    .vgpr_count:     13
    .vgpr_spill_count: 0
    .wavefront_size: 64
  - .agpr_count:     0
    .args:
      - .address_space:  global
        .offset:         0
        .size:           8
        .value_kind:     global_buffer
      - .offset:         8
        .size:           4
        .value_kind:     by_value
      - .offset:         12
        .size:           4
        .value_kind:     by_value
      - .offset:         16
        .size:           4
        .value_kind:     hidden_block_count_x
      - .offset:         20
        .size:           4
        .value_kind:     hidden_block_count_y
      - .offset:         24
        .size:           4
        .value_kind:     hidden_block_count_z
      - .offset:         28
        .size:           2
        .value_kind:     hidden_group_size_x
      - .offset:         30
        .size:           2
        .value_kind:     hidden_group_size_y
      - .offset:         32
        .size:           2
        .value_kind:     hidden_group_size_z
      - .offset:         34
        .size:           2
        .value_kind:     hidden_remainder_x
      - .offset:         36
        .size:           2
        .value_kind:     hidden_remainder_y
      - .offset:         38
        .size:           2
        .value_kind:     hidden_remainder_z
      - .offset:         56
        .size:           8
        .value_kind:     hidden_global_offset_x
      - .offset:         64
        .size:           8
        .value_kind:     hidden_global_offset_y
      - .offset:         72
        .size:           8
        .value_kind:     hidden_global_offset_z
      - .offset:         80
        .size:           2
        .value_kind:     hidden_grid_dims
      - .offset:         96
        .size:           8
        .value_kind:     hidden_hostcall_buffer
    .group_segment_fixed_size: 0
    .kernarg_segment_align: 8
    .kernarg_segment_size: 272
    .language:       OpenCL C
    .language_version:
      - 2
      - 0
    .max_flat_workgroup_size: 1024
    .name:           _Z10vec_verifyIiEvPT_S0_i
    .private_segment_fixed_size: 0
    .sgpr_count:     39
    .sgpr_spill_count: 0
    .symbol:         _Z10vec_verifyIiEvPT_S0_i.kd
    .uniform_work_group_size: 1
    .uses_dynamic_stack: false
    .vgpr_count:     43
    .vgpr_spill_count: 0
    .wavefront_size: 64
  - .agpr_count:     0
    .args:
      - .address_space:  global
        .offset:         0
        .size:           8
        .value_kind:     global_buffer
      - .offset:         8
        .size:           8
        .value_kind:     by_value
      - .offset:         16
        .size:           4
        .value_kind:     by_value
      - .offset:         24
        .size:           4
        .value_kind:     hidden_block_count_x
      - .offset:         28
        .size:           4
        .value_kind:     hidden_block_count_y
      - .offset:         32
        .size:           4
        .value_kind:     hidden_block_count_z
      - .offset:         36
        .size:           2
        .value_kind:     hidden_group_size_x
      - .offset:         38
        .size:           2
        .value_kind:     hidden_group_size_y
      - .offset:         40
        .size:           2
        .value_kind:     hidden_group_size_z
      - .offset:         42
        .size:           2
        .value_kind:     hidden_remainder_x
      - .offset:         44
        .size:           2
        .value_kind:     hidden_remainder_y
      - .offset:         46
        .size:           2
        .value_kind:     hidden_remainder_z
      - .offset:         64
        .size:           8
        .value_kind:     hidden_global_offset_x
      - .offset:         72
        .size:           8
        .value_kind:     hidden_global_offset_y
      - .offset:         80
        .size:           8
        .value_kind:     hidden_global_offset_z
      - .offset:         88
        .size:           2
        .value_kind:     hidden_grid_dims
    .group_segment_fixed_size: 0
    .kernarg_segment_align: 8
    .kernarg_segment_size: 280
    .language:       OpenCL C
    .language_version:
      - 2
      - 0
    .max_flat_workgroup_size: 1024
    .name:           _Z8vec_fillIdEvPT_S0_i
    .private_segment_fixed_size: 0
    .sgpr_count:     15
    .sgpr_spill_count: 0
    .symbol:         _Z8vec_fillIdEvPT_S0_i.kd
    .uniform_work_group_size: 1
    .uses_dynamic_stack: false
    .vgpr_count:     6
    .vgpr_spill_count: 0
    .wavefront_size: 64
  - .agpr_count:     0
    .args:
      - .address_space:  global
        .offset:         0
        .size:           8
        .value_kind:     global_buffer
      - .offset:         8
        .size:           8
        .value_kind:     by_value
      - .offset:         16
        .size:           4
        .value_kind:     by_value
      - .offset:         24
        .size:           4
        .value_kind:     hidden_block_count_x
      - .offset:         28
        .size:           4
        .value_kind:     hidden_block_count_y
      - .offset:         32
        .size:           4
        .value_kind:     hidden_block_count_z
      - .offset:         36
        .size:           2
        .value_kind:     hidden_group_size_x
      - .offset:         38
        .size:           2
        .value_kind:     hidden_group_size_y
      - .offset:         40
        .size:           2
        .value_kind:     hidden_group_size_z
      - .offset:         42
        .size:           2
        .value_kind:     hidden_remainder_x
      - .offset:         44
        .size:           2
        .value_kind:     hidden_remainder_y
      - .offset:         46
        .size:           2
        .value_kind:     hidden_remainder_z
      - .offset:         64
        .size:           8
        .value_kind:     hidden_global_offset_x
      - .offset:         72
        .size:           8
        .value_kind:     hidden_global_offset_y
      - .offset:         80
        .size:           8
        .value_kind:     hidden_global_offset_z
      - .offset:         88
        .size:           2
        .value_kind:     hidden_grid_dims
      - .offset:         104
        .size:           8
        .value_kind:     hidden_hostcall_buffer
    .group_segment_fixed_size: 0
    .kernarg_segment_align: 8
    .kernarg_segment_size: 280
    .language:       OpenCL C
    .language_version:
      - 2
      - 0
    .max_flat_workgroup_size: 1024
    .name:           _Z10vec_verifyIdEvPT_S0_i
    .private_segment_fixed_size: 0
    .sgpr_count:     40
    .sgpr_spill_count: 0
    .symbol:         _Z10vec_verifyIdEvPT_S0_i.kd
    .uniform_work_group_size: 1
    .uses_dynamic_stack: false
    .vgpr_count:     43
    .vgpr_spill_count: 0
    .wavefront_size: 64
amdhsa.target:   amdgcn-amd-amdhsa--gfx90a
amdhsa.version:
  - 1
  - 2
...

	.end_amdgpu_metadata
